;; amdgpu-corpus repo=ggml-org/llama.cpp kind=compiled arch=gfx90a opt=O3
	.text
	.amdgcn_target "amdgcn-amd-amdhsa--gfx90a"
	.amdhsa_code_object_version 6
	.section	.text._ZL18flash_attn_ext_f16ILi192ELi128ELi2ELi16ELb0ELb0EEvPKcS1_S1_S1_S1_PKiPfP15HIP_vector_typeIfLj2EEffffjfiS5_IjLj3EEiiiiiiiiiiiliiliiiiil,"axG",@progbits,_ZL18flash_attn_ext_f16ILi192ELi128ELi2ELi16ELb0ELb0EEvPKcS1_S1_S1_S1_PKiPfP15HIP_vector_typeIfLj2EEffffjfiS5_IjLj3EEiiiiiiiiiiiliiliiiiil,comdat
	.globl	_ZL18flash_attn_ext_f16ILi192ELi128ELi2ELi16ELb0ELb0EEvPKcS1_S1_S1_S1_PKiPfP15HIP_vector_typeIfLj2EEffffjfiS5_IjLj3EEiiiiiiiiiiiliiliiiiil ; -- Begin function _ZL18flash_attn_ext_f16ILi192ELi128ELi2ELi16ELb0ELb0EEvPKcS1_S1_S1_S1_PKiPfP15HIP_vector_typeIfLj2EEffffjfiS5_IjLj3EEiiiiiiiiiiiliiliiiiil
	.p2align	8
	.type	_ZL18flash_attn_ext_f16ILi192ELi128ELi2ELi16ELb0ELb0EEvPKcS1_S1_S1_S1_PKiPfP15HIP_vector_typeIfLj2EEffffjfiS5_IjLj3EEiiiiiiiiiiiliiliiiiil,@function
_ZL18flash_attn_ext_f16ILi192ELi128ELi2ELi16ELb0ELb0EEvPKcS1_S1_S1_S1_PKiPfP15HIP_vector_typeIfLj2EEffffjfiS5_IjLj3EEiiiiiiiiiiiliiliiiiil: ; @_ZL18flash_attn_ext_f16ILi192ELi128ELi2ELi16ELb0ELb0EEvPKcS1_S1_S1_S1_PKiPfP15HIP_vector_typeIfLj2EEffffjfiS5_IjLj3EEiiiiiiiiiiiliiliiiiil
; %bb.0:
	s_load_dwordx2 s[2:3], s[4:5], 0x80
	s_load_dwordx4 s[36:39], s[4:5], 0x64
	s_mov_b32 s44, s6
                                        ; implicit-def: $vgpr255 : SGPR spill to VGPR lane
	s_load_dword s35, s[4:5], 0xd0
	s_mov_b32 s0, 0
	s_waitcnt lgkmcnt(0)
	s_abs_i32 s1, s3
	v_cvt_f32_u32_e32 v1, s1
	s_sub_i32 s8, 0, s1
	s_abs_i32 s7, s37
	s_xor_b32 s6, s37, s3
	v_rcp_iflag_f32_e32 v1, v1
	s_ashr_i32 s6, s6, 31
	v_cvt_f32_u32_e32 v2, s35
	v_cvt_f32_ubyte0_e32 v3, 0
	v_mul_f32_e32 v1, 0x4f7ffffe, v1
	v_cvt_u32_f32_e32 v1, v1
	v_readfirstlane_b32 s9, v1
	s_mul_i32 s8, s8, s9
	s_mul_hi_u32 s8, s9, s8
	s_add_i32 s9, s9, s8
	s_mul_hi_u32 s8, s7, s9
	s_mul_i32 s9, s8, s1
	s_sub_i32 s7, s7, s9
	s_add_i32 s10, s8, 1
	s_sub_i32 s9, s7, s1
	s_cmp_ge_u32 s7, s1
	s_cselect_b32 s8, s10, s8
	s_cselect_b32 s7, s9, s7
	s_add_i32 s9, s8, 1
	s_cmp_ge_u32 s7, s1
	s_cselect_b32 s1, s9, s8
	s_add_i32 s2, s2, 63
	s_xor_b32 s1, s1, s6
	s_ashr_i32 s7, s2, 31
	s_sub_i32 s33, s1, s6
	s_lshr_b32 s1, s7, 26
	s_add_i32 s2, s2, s1
	s_add_i32 s1, s36, 1
	s_lshr_b32 s6, s1, 1
	s_add_i32 s1, s33, 15
	s_ashr_i32 s84, s2, 6
	s_ashr_i32 s2, s1, 31
	s_lshr_b32 s2, s2, 28
	s_add_i32 s1, s1, s2
	s_ashr_i32 s1, s1, 4
	v_writelane_b32 v255, s6, 0
	s_mul_i32 s2, s6, s84
	v_writelane_b32 v255, s2, 1
	s_mul_i32 s1, s2, s1
	;; [unrolled: 2-line block ×3, first 2 shown]
	s_mul_i32 s6, s1, s38
	s_ashr_i32 s7, s6, 31
	v_writelane_b32 v255, s1, 3
	s_mul_i32 s1, s7, s44
	s_mul_hi_u32 s2, s6, s44
	s_add_i32 s1, s2, s1
	s_mul_i32 s8, s6, s44
	s_cmp_lg_u64 s[0:1], 0
	s_cbranch_scc0 .LBB0_5
; %bb.1:
	v_madmk_f32 v1, v3, 0x4f800000, v2
	v_rcp_f32_e32 v1, v1
	s_sub_u32 s0, 0, s35
	s_subb_u32 s9, 0, 0
	v_mul_f32_e32 v1, 0x5f7ffffc, v1
	v_mul_f32_e32 v4, 0x2f800000, v1
	v_trunc_f32_e32 v4, v4
	v_madmk_f32 v1, v4, 0xcf800000, v1
	v_cvt_u32_f32_e32 v4, v4
	v_cvt_u32_f32_e32 v1, v1
	v_readfirstlane_b32 s10, v4
	v_readfirstlane_b32 s11, v1
	s_mul_hi_u32 s13, s0, s11
	s_mul_i32 s14, s0, s10
	s_mul_i32 s12, s9, s11
	s_add_i32 s13, s13, s14
	s_add_i32 s13, s13, s12
	s_mul_i32 s15, s0, s11
	s_mul_hi_u32 s12, s11, s13
	s_mul_i32 s14, s11, s13
	s_mul_hi_u32 s11, s11, s15
	s_add_u32 s11, s11, s14
	s_addc_u32 s12, 0, s12
	s_mul_hi_u32 s16, s10, s15
	s_mul_i32 s15, s10, s15
	s_add_u32 s11, s11, s15
	s_mul_hi_u32 s14, s10, s13
	s_addc_u32 s11, s12, s16
	s_addc_u32 s12, s14, 0
	s_mul_i32 s13, s10, s13
	s_add_u32 s11, s11, s13
	s_addc_u32 s12, 0, s12
	v_add_co_u32_e32 v1, vcc, s11, v1
	s_cmp_lg_u64 vcc, 0
	s_addc_u32 s10, s10, s12
	v_readfirstlane_b32 s12, v1
	s_mul_i32 s11, s0, s10
	s_mul_hi_u32 s13, s0, s12
	s_add_i32 s11, s13, s11
	s_mul_i32 s9, s9, s12
	s_add_i32 s11, s11, s9
	s_mul_i32 s0, s0, s12
	s_mul_hi_u32 s13, s10, s0
	s_mul_i32 s14, s10, s0
	s_mul_i32 s16, s12, s11
	s_mul_hi_u32 s0, s12, s0
	s_mul_hi_u32 s15, s12, s11
	s_add_u32 s0, s0, s16
	s_addc_u32 s12, 0, s15
	s_add_u32 s0, s0, s14
	s_mul_hi_u32 s9, s10, s11
	s_addc_u32 s0, s12, s13
	s_addc_u32 s9, s9, 0
	s_mul_i32 s11, s10, s11
	s_add_u32 s0, s0, s11
	s_addc_u32 s9, 0, s9
	v_add_co_u32_e32 v1, vcc, s0, v1
	s_cmp_lg_u64 vcc, 0
	s_addc_u32 s9, s10, s9
	s_ashr_i32 s10, s1, 31
	s_add_u32 s0, s8, s10
	s_mov_b32 s11, s10
	s_addc_u32 s1, s1, s10
	s_xor_b64 s[0:1], s[0:1], s[10:11]
	v_readfirstlane_b32 s14, v1
	s_mul_i32 s13, s0, s9
	s_mul_hi_u32 s15, s0, s14
	s_mul_hi_u32 s12, s0, s9
	s_add_u32 s13, s15, s13
	s_addc_u32 s12, 0, s12
	s_mul_hi_u32 s16, s1, s14
	s_mul_i32 s14, s1, s14
	s_add_u32 s13, s13, s14
	s_mul_hi_u32 s15, s1, s9
	s_addc_u32 s12, s12, s16
	s_addc_u32 s13, s15, 0
	s_mul_i32 s9, s1, s9
	s_add_u32 s9, s12, s9
	s_addc_u32 s12, 0, s13
	s_add_u32 s13, s9, 1
	s_addc_u32 s14, s12, 0
	s_add_u32 s15, s9, 2
	s_mul_i32 s17, s35, s12
	s_mul_hi_u32 s18, s35, s9
	s_addc_u32 s16, s12, 0
	s_add_i32 s18, s18, s17
	s_mul_i32 s17, s35, s9
	v_mov_b32_e32 v1, s17
	v_sub_co_u32_e32 v1, vcc, s0, v1
	s_cmp_lg_u64 vcc, 0
	s_subb_u32 s0, s1, s18
	v_subrev_co_u32_e32 v4, vcc, s35, v1
	s_cmp_lg_u64 vcc, 0
	s_subb_u32 s1, s0, 0
	v_readfirstlane_b32 s17, v4
	s_cmp_ge_u32 s17, s35
	s_cselect_b32 s17, -1, 0
	s_cmp_eq_u32 s1, 0
	s_cselect_b32 s1, s17, -1
	s_cmp_lg_u32 s1, 0
	s_cselect_b32 s1, s16, s14
	v_readfirstlane_b32 s14, v1
	s_cselect_b32 s13, s15, s13
	s_cmp_ge_u32 s14, s35
	s_cselect_b32 s14, -1, 0
	s_cmp_eq_u32 s0, 0
	s_cselect_b32 s0, s14, -1
	s_cmp_lg_u32 s0, 0
	s_cselect_b32 s1, s1, s12
	s_cselect_b32 s0, s13, s9
	s_xor_b64 s[0:1], s[0:1], s[10:11]
	s_sub_u32 s56, s0, s10
	s_load_dwordx2 s[54:55], s[4:5], 0x74
	v_cvt_f32_u32_e32 v1, s35
	s_cbranch_execnz .LBB0_3
.LBB0_2:
	v_rcp_iflag_f32_e32 v4, v1
	s_sub_i32 s0, 0, s35
	v_mul_f32_e32 v4, 0x4f7ffffe, v4
	v_cvt_u32_f32_e32 v4, v4
	v_readfirstlane_b32 s1, v4
	s_mul_i32 s0, s0, s1
	s_mul_hi_u32 s0, s1, s0
	s_add_i32 s1, s1, s0
	s_mul_hi_u32 s0, s8, s1
	s_mul_i32 s2, s0, s35
	s_sub_i32 s2, s8, s2
	s_add_i32 s1, s0, 1
	s_sub_i32 s3, s2, s35
	s_cmp_ge_u32 s2, s35
	s_cselect_b32 s0, s1, s0
	s_cselect_b32 s2, s3, s2
	s_add_i32 s1, s0, 1
	s_cmp_ge_u32 s2, s35
	s_cselect_b32 s56, s1, s0
.LBB0_3:
	s_add_i32 s0, s44, 1
	s_mul_i32 s1, s7, s0
	s_mul_hi_u32 s2, s6, s0
	s_add_i32 s3, s2, s1
	s_mov_b32 s2, 0
	s_cmp_lg_u64 s[2:3], 0
	s_mul_i32 s2, s6, s0
	s_cbranch_scc0 .LBB0_6
; %bb.4:
	v_madmk_f32 v2, v3, 0x4f800000, v2
	v_rcp_f32_e32 v2, v2
	s_sub_u32 s6, 0, s35
	s_subb_u32 s7, 0, 0
	s_mov_b64 s[0:1], 0
	v_mul_f32_e32 v2, 0x5f7ffffc, v2
	v_mul_f32_e32 v3, 0x2f800000, v2
	v_trunc_f32_e32 v3, v3
	v_madmk_f32 v2, v3, 0xcf800000, v2
	v_cvt_u32_f32_e32 v3, v3
	v_cvt_u32_f32_e32 v2, v2
	v_readfirstlane_b32 s8, v3
	v_readfirstlane_b32 s9, v2
	s_mul_hi_u32 s11, s6, s9
	s_mul_i32 s12, s6, s8
	s_mul_i32 s10, s7, s9
	s_add_i32 s11, s11, s12
	s_add_i32 s11, s11, s10
	s_mul_i32 s13, s6, s9
	s_mul_hi_u32 s10, s9, s11
	s_mul_i32 s12, s9, s11
	s_mul_hi_u32 s9, s9, s13
	s_add_u32 s9, s9, s12
	s_addc_u32 s10, 0, s10
	s_mul_hi_u32 s14, s8, s13
	s_mul_i32 s13, s8, s13
	s_add_u32 s9, s9, s13
	s_mul_hi_u32 s12, s8, s11
	s_addc_u32 s9, s10, s14
	s_addc_u32 s10, s12, 0
	s_mul_i32 s11, s8, s11
	s_add_u32 s9, s9, s11
	s_addc_u32 s10, 0, s10
	v_add_co_u32_e32 v2, vcc, s9, v2
	s_cmp_lg_u64 vcc, 0
	s_addc_u32 s8, s8, s10
	v_readfirstlane_b32 s10, v2
	s_mul_i32 s9, s6, s8
	s_mul_hi_u32 s11, s6, s10
	s_add_i32 s9, s11, s9
	s_mul_i32 s7, s7, s10
	s_add_i32 s9, s9, s7
	s_mul_i32 s6, s6, s10
	s_mul_hi_u32 s11, s8, s6
	s_mul_i32 s12, s8, s6
	s_mul_i32 s14, s10, s9
	s_mul_hi_u32 s6, s10, s6
	s_mul_hi_u32 s13, s10, s9
	s_add_u32 s6, s6, s14
	s_addc_u32 s10, 0, s13
	s_add_u32 s6, s6, s12
	s_mul_hi_u32 s7, s8, s9
	s_addc_u32 s6, s10, s11
	s_addc_u32 s7, s7, 0
	s_mul_i32 s9, s8, s9
	s_add_u32 s6, s6, s9
	s_addc_u32 s7, 0, s7
	v_add_co_u32_e32 v2, vcc, s6, v2
	s_cmp_lg_u64 vcc, 0
	s_addc_u32 s10, s8, s7
	s_ashr_i32 s6, s3, 31
	s_add_u32 s8, s2, s6
	s_mov_b32 s7, s6
	s_addc_u32 s9, s3, s6
	s_xor_b64 s[8:9], s[8:9], s[6:7]
	v_readfirstlane_b32 s12, v2
	s_mul_i32 s11, s8, s10
	s_mul_hi_u32 s13, s8, s12
	s_mul_hi_u32 s3, s8, s10
	s_add_u32 s11, s13, s11
	s_addc_u32 s3, 0, s3
	s_mul_hi_u32 s14, s9, s12
	s_mul_i32 s12, s9, s12
	s_add_u32 s11, s11, s12
	s_mul_hi_u32 s13, s9, s10
	s_addc_u32 s3, s3, s14
	s_addc_u32 s11, s13, 0
	s_mul_i32 s10, s9, s10
	s_add_u32 s3, s3, s10
	s_addc_u32 s10, 0, s11
	s_add_u32 s11, s3, 1
	s_addc_u32 s12, s10, 0
	s_add_u32 s13, s3, 2
	s_mul_i32 s15, s35, s10
	s_mul_hi_u32 s16, s35, s3
	s_addc_u32 s14, s10, 0
	s_add_i32 s16, s16, s15
	s_mul_i32 s15, s35, s3
	v_mov_b32_e32 v2, s15
	v_sub_co_u32_e32 v2, vcc, s8, v2
	s_cmp_lg_u64 vcc, 0
	s_subb_u32 s8, s9, s16
	v_subrev_co_u32_e32 v3, vcc, s35, v2
	s_cmp_lg_u64 vcc, 0
	s_subb_u32 s9, s8, 0
	v_readfirstlane_b32 s15, v3
	s_cmp_ge_u32 s15, s35
	s_cselect_b32 s15, -1, 0
	s_cmp_eq_u32 s9, 0
	s_cselect_b32 s9, s15, -1
	s_cmp_lg_u32 s9, 0
	s_cselect_b32 s9, s14, s12
	v_readfirstlane_b32 s12, v2
	s_cselect_b32 s11, s13, s11
	s_cmp_ge_u32 s12, s35
	s_cselect_b32 s12, -1, 0
	s_cmp_eq_u32 s8, 0
	s_cselect_b32 s8, s12, -1
	s_cmp_lg_u32 s8, 0
	s_cselect_b32 s9, s9, s10
	s_cselect_b32 s8, s11, s3
	s_xor_b64 s[8:9], s[8:9], s[6:7]
	s_sub_u32 s60, s8, s6
	s_branch .LBB0_7
.LBB0_5:
                                        ; implicit-def: $sgpr56_sgpr57
	s_load_dwordx2 s[54:55], s[4:5], 0x74
	v_cvt_f32_u32_e32 v1, s35
	s_branch .LBB0_2
.LBB0_6:
	s_mov_b64 s[0:1], -1
                                        ; implicit-def: $sgpr60_sgpr61
.LBB0_7:
	s_load_dwordx2 s[6:7], s[4:5], 0x5c
	s_andn2_b64 vcc, exec, s[0:1]
	s_waitcnt lgkmcnt(0)
	v_writelane_b32 v255, s6, 4
	v_writelane_b32 v255, s7, 5
	s_cbranch_vccnz .LBB0_9
; %bb.8:
	v_rcp_iflag_f32_e32 v1, v1
	s_sub_i32 s0, 0, s35
	v_mul_f32_e32 v1, 0x4f7ffffe, v1
	v_cvt_u32_f32_e32 v1, v1
	v_readfirstlane_b32 s1, v1
	s_mul_i32 s0, s0, s1
	s_mul_hi_u32 s0, s1, s0
	s_add_i32 s1, s1, s0
	s_mul_hi_u32 s0, s2, s1
	s_mul_i32 s3, s0, s35
	s_sub_i32 s2, s2, s3
	s_add_i32 s1, s0, 1
	s_sub_i32 s3, s2, s35
	s_cmp_ge_u32 s2, s35
	s_cselect_b32 s0, s1, s0
	s_cselect_b32 s2, s3, s2
	s_add_i32 s1, s0, 1
	s_cmp_ge_u32 s2, s35
	s_cselect_b32 s60, s1, s0
.LBB0_9:
	s_abs_i32 s85, s84
	v_cvt_f32_u32_e32 v1, s85
	s_sub_i32 s2, 0, s85
	s_load_dwordx16 s[16:31], s[4:5], 0x0
	s_load_dword s6, s[4:5], 0x40
	s_load_dwordx2 s[0:1], s[4:5], 0x8c
	s_load_dwordx4 s[40:43], s[4:5], 0x98
	s_load_dwordx2 s[48:49], s[4:5], 0xa8
	s_load_dwordx2 s[12:13], s[4:5], 0xb8
	;; [unrolled: 1-line block ×3, first 2 shown]
	s_waitcnt lgkmcnt(0)
	v_writelane_b32 v255, s0, 6
	v_rcp_iflag_f32_e32 v1, v1
	v_writelane_b32 v255, s1, 7
	s_abs_i32 s1, s56
	s_ashr_i32 s57, s39, 3
	v_mul_f32_e32 v1, 0x4f7ffffe, v1
	v_cvt_u32_f32_e32 v1, v1
	s_ashr_i32 s45, s54, 3
	s_ashr_i32 s38, s0, 2
	;; [unrolled: 1-line block ×3, first 2 shown]
	v_readfirstlane_b32 s52, v1
	s_mul_i32 s2, s2, s52
	s_mul_hi_u32 s2, s52, s2
	s_add_i32 s52, s52, s2
	s_mul_hi_u32 s2, s1, s52
	s_mul_i32 s2, s2, s85
	s_sub_i32 s1, s1, s2
	s_ashr_i32 s34, s42, 2
	s_ashr_i32 s0, s56, 31
	;; [unrolled: 1-line block ×3, first 2 shown]
	s_sub_i32 s2, s1, s85
	s_cmp_ge_u32 s1, s85
	s_cselect_b32 s1, s2, s1
	s_sub_i32 s2, s1, s85
	s_cmp_ge_u32 s1, s85
	s_cselect_b32 s1, s2, s1
	s_xor_b32 s1, s1, s0
	s_sub_i32 s76, s1, s0
	s_sub_i32 s0, s60, s56
	s_add_i32 s2, s0, s76
	s_min_i32 s80, s84, s2
	s_cmp_gt_i32 s60, s56
	s_cselect_b64 s[10:11], -1, 0
	s_cmp_le_i32 s60, s56
	v_cvt_f16_f32_e32 v1, s6
	s_cselect_b64 s[0:1], -1, 0
	s_cmp_gt_i32 s84, s2
	s_cselect_b64 s[2:3], -1, 0
	s_or_b64 s[0:1], s[2:3], s[0:1]
	v_bfe_u32 v57, v0, 10, 10
	s_mov_b32 s63, 0
	s_and_b64 vcc, exec, s[0:1]
	v_pack_b32_f16 v51, v1, v1
	v_lshlrev_b32_e32 v61, 3, v57
	v_lshlrev_b32_e32 v202, 4, v57
	v_lshrrev_b32_e32 v55, 1, v57
	v_and_b32_e32 v200, 1, v57
	v_lshrrev_b32_e32 v79, 4, v57
	v_and_b32_e32 v71, 15, v57
	v_add_u32_e32 v77, 4, v57
	v_add_u32_e32 v75, 8, v57
	;; [unrolled: 1-line block ×7, first 2 shown]
	s_cbranch_vccz .LBB0_12
; %bb.10:
	s_andn2_b64 vcc, exec, s[10:11]
	s_cbranch_vccz .LBB0_311
.LBB0_11:
	s_endpgm
.LBB0_12:
	s_cmp_eq_u64 s[24:25], 0
	v_writelane_b32 v255, s35, 8
	s_cselect_b64 s[0:1], -1, 0
	v_writelane_b32 v255, s0, 9
	s_cmp_lg_u64 s[26:27], 0
	v_writelane_b32 v255, s1, 10
	s_cselect_b64 s[0:1], -1, 0
	v_and_b32_e32 v30, 0x3ff, v0
	v_writelane_b32 v255, s0, 11
	v_lshrrev_b32_e32 v4, 3, v30
	v_writelane_b32 v255, s1, 12
	v_and_b32_e32 v2, 0x7f0, v61
	s_movk_i32 s0, 0x190
	v_and_b32_e32 v32, 15, v30
	v_and_b32_e32 v5, 30, v4
	v_mad_u32_u24 v2, v2, s0, 0
	v_mul_u32_u24_e32 v3, 0x190, v32
	v_lshlrev_b32_e32 v6, 2, v5
	v_lshrrev_b32_e32 v101, 5, v30
	v_add3_u32 v125, v2, v3, v6
	v_lshlrev_b32_e32 v3, 1, v30
	v_lshl_add_u32 v1, v57, 1, v101
	v_and_b32_e32 v34, 62, v3
	v_add_u32_e32 v12, v4, v61
	v_lshlrev_b32_e32 v14, 2, v30
	v_mul_u32_u24_e32 v2, 0x90, v1
	v_lshlrev_b32_e32 v3, 1, v34
	v_add_u32_e32 v10, 32, v12
	v_and_b32_e32 v36, 28, v14
	v_add3_u32 v127, 0, v2, v3
	v_and_b32_e32 v2, 16, v202
	s_movk_i32 s2, 0x110
	v_mul_u32_u24_e32 v7, 0x110, v10
	v_lshlrev_b32_e32 v9, 2, v36
	v_mad_u32_u24 v3, v32, s2, 0
	v_add3_u32 v131, 0, v7, v9
	v_mul_u32_u24_e32 v7, 0x110, v2
	v_add3_u32 v133, v3, v6, v7
	v_lshrrev_b32_e32 v3, 2, v30
	v_and_b32_e32 v3, 60, v3
	s_movk_i32 s0, 0x90
	v_add_u32_e32 v6, v3, v2
	v_add_u16_e32 v2, v3, v2
	v_or_b32_e32 v4, 1, v4
	v_mad_u32_u24 v7, v55, s0, 0
	v_lshrrev_b16_e32 v2, 1, v2
	v_mul_u32_u24_e32 v3, 0x110, v5
	v_mul_u32_u24_e32 v4, 0x110, v4
	;; [unrolled: 1-line block ×3, first 2 shown]
	v_lshl_add_u32 v135, v2, 2, v7
	v_lshl_add_u32 v15, v6, 1, v7
	v_and_b32_e32 v2, 8, v61
	v_or_b32_e32 v6, v3, v32
	v_or_b32_e32 v7, v4, v32
	s_movk_i32 s0, 0x220
	v_add3_u32 v129, 0, v8, v9
	v_mul_u32_u24_e32 v8, 0x220, v2
	v_mad_u32_u24 v9, v2, s0, 0
	v_lshlrev_b32_e32 v6, 1, v6
	v_lshlrev_b32_e32 v11, 1, v32
	;; [unrolled: 1-line block ×3, first 2 shown]
	s_movk_i32 s1, 0x2200
	v_add_u32_e32 v137, v9, v6
	v_add_u32_e32 v13, v9, v11
	;; [unrolled: 1-line block ×3, first 2 shown]
	v_add3_u32 v9, 0, 32, v8
	v_add3_u32 v8, 0, 64, v8
	s_add_i32 s3, 0, 0x60
	v_add_u32_e32 v143, v9, v6
	v_add3_u32 v16, v9, v11, s1
	v_add_u32_e32 v144, v9, v7
	v_add_u32_e32 v145, v8, v6
	v_add3_u32 v9, v8, v11, s1
	v_add_u32_e32 v146, v8, v7
	v_mov_b32_e32 v8, s3
	v_mad_u32_u24 v8, v2, s0, v8
	s_add_i32 s3, 0, 0x80
	v_add_u32_e32 v147, v8, v6
	v_add3_u32 v17, v8, v11, s1
	v_add_u32_e32 v148, v8, v7
	v_mov_b32_e32 v8, s3
	v_mad_u32_u24 v8, v2, s0, v8
	s_add_i32 s3, 0, 0xa0
	v_add_u32_e32 v149, v8, v6
	v_add3_u32 v18, v8, v11, s1
	v_add_u32_e32 v150, v8, v7
	v_mov_b32_e32 v8, s3
	s_add_i32 s3, 0, 0xc0
	v_mov_b32_e32 v19, s3
	s_add_i32 s3, 0, 0xe0
	v_mov_b32_e32 v20, s3
	v_mad_u32_u24 v8, v2, s0, v8
	v_mad_u32_u24 v19, v2, s0, v19
	;; [unrolled: 1-line block ×3, first 2 shown]
	v_add_u32_e32 v151, v8, v6
	v_add_u32_e32 v153, v19, v6
	;; [unrolled: 1-line block ×3, first 2 shown]
	v_add3_u32 v6, v2, v11, s1
	v_add_u32_e32 v156, v2, v7
	v_lshlrev_b32_e32 v2, 1, v3
	v_lshlrev_b32_e32 v3, 1, v4
	v_add_u32_e32 v4, 0x2200, v13
	v_add_u32_e32 v157, v4, v2
	;; [unrolled: 1-line block ×13, first 2 shown]
	s_lshl_b32 s62, s44, 5
	v_add3_u32 v20, v8, v11, s1
	v_add_u32_e32 v152, v8, v7
	v_add3_u32 v8, v19, v11, s1
	v_add_u32_e32 v171, v4, v2
	v_add_u32_e32 v172, v4, v3
	v_add_u32_e32 v4, 0xa0, v13
	s_ashr_i32 s47, s46, 31
	s_ashr_i32 s39, s38, 31
	s_lshl_b32 s4, s38, 4
	s_ashr_i32 s35, s34, 31
	s_lshl_b32 s3, s34, 4
	v_writelane_b32 v255, s44, 13
	s_lshl_b64 s[0:1], s[62:63], 3
	v_add_u32_e32 v175, v4, v2
	v_add_u32_e32 v176, v4, v3
	;; [unrolled: 1-line block ×3, first 2 shown]
	s_add_u32 s0, s30, s0
	v_readlane_b32 s58, v255, 3
	v_add_u32_e32 v179, v4, v2
	v_add_u32_e32 v180, v4, v3
	;; [unrolled: 1-line block ×3, first 2 shown]
	s_addc_u32 s1, s31, s1
	s_abs_i32 s59, s58
	v_add_u32_e32 v185, v4, v2
	v_add_u32_e32 v186, v4, v3
	v_cvt_f32_u32_e32 v4, s59
	v_add_u32_e32 v161, v16, v2
	v_add_u32_e32 v165, v9, v2
	;; [unrolled: 1-line block ×8, first 2 shown]
	v_or_b32_e32 v2, v61, v30
	v_lshlrev_b32_e32 v2, 3, v2
	v_add_u32_e32 v162, v16, v3
	v_add_u32_e32 v166, v9, v3
	;; [unrolled: 1-line block ×8, first 2 shown]
	v_mov_b32_e32 v3, s1
	v_add_co_u32_e32 v38, vcc, s0, v2
	v_readlane_b32 s53, v255, 2
	v_addc_co_u32_e32 v39, vcc, 0, v3, vcc
	v_rcp_iflag_f32_e32 v3, v4
	s_abs_i32 s86, s53
	v_cvt_f32_u32_e32 v4, s86
	s_movk_i32 s6, 0x44
	v_or_b32_e32 v2, v202, v32
	v_readlane_b32 s44, v255, 1
	v_mad_u32_u24 v22, v2, s6, v5
	v_mul_f32_e32 v2, 0x4f7ffffe, v3
	s_abs_i32 s87, s44
	s_abs_i32 s88, s12
	v_cvt_u32_f32_e32 v2, v2
	v_rcp_iflag_f32_e32 v3, v4
	v_cvt_f32_u32_e32 v4, s87
	v_cvt_f32_u32_e32 v5, s88
	v_readfirstlane_b32 s7, v2
	s_mov_b32 s0, s12
	v_rcp_iflag_f32_e32 v2, v4
	v_rcp_iflag_f32_e32 v4, v5
	v_writelane_b32 v255, s0, 14
	v_writelane_b32 v255, s1, 15
	v_cmp_gt_u32_e64 s[10:11], 32, v30
	v_mul_f32_e32 v2, 0x4f7ffffe, v2
	v_mul_f32_e32 v4, 0x4f7ffffe, v4
	v_writelane_b32 v255, s10, 16
	v_cvt_u32_f32_e32 v2, v2
	v_cvt_u32_f32_e32 v4, v4
	v_and_b32_e32 v23, 31, v30
	v_writelane_b32 v255, s11, 17
	v_lshl_add_u32 v201, v22, 2, 0
	s_movk_i32 s10, 0x54
	v_add_u32_e32 v22, v202, v30
	v_add_u32_e32 v24, v202, v23
	v_accvgpr_write_b32 a8, v202
	v_mul_u32_u24_e32 v202, 0x110, v22
	v_mad_u32_u24 v22, v57, s10, v22
	s_movk_i32 s15, 0x64
	v_lshl_add_u32 v203, v22, 2, 0
	v_mad_u32_u24 v22, v1, s15, v23
	s_sub_i32 s0, 0, s88
	v_lshl_add_u32 v204, v22, 2, 0
	v_add_u32_e32 v22, 8, v1
	v_readfirstlane_b32 s8, v2
	v_mul_lo_u32 v2, s0, v4
	v_cmp_gt_u32_e64 s[0:1], 2, v1
	v_lshrrev_b32_e32 v205, 4, v22
	v_and_b32_e32 v206, 15, v22
	v_add_u32_e32 v22, 16, v1
	v_lshrrev_b32_e32 v208, 4, v1
	v_and_b32_e32 v209, 15, v1
	v_add_u32_e32 v1, 24, v1
	s_movk_i32 s14, 0xe0
	v_lshrrev_b32_e32 v207, 4, v22
	v_and_b32_e32 v211, 15, v1
	v_or_b32_e32 v22, 64, v23
	v_bfe_u32 v50, v57, 1, 4
	v_mul_hi_u32 v2, v4, v2
	v_lshrrev_b32_e32 v210, 4, v1
	v_mad_u64_u32 v[48:49], s[10:11], v211, s45, v[22:23]
	v_and_or_b32 v1, v57, s14, v50
	v_add_u32_e32 v189, v4, v2
	v_lshrrev_b32_e32 v2, 4, v30
	v_mul_u32_u24_e32 v49, 0x110, v1
	v_mad_u32_u24 v1, v1, s6, v30
	v_lshl_add_u32 v16, v57, 2, v2
	v_lshl_add_u32 v63, v1, 2, 0
	v_add_u32_e32 v1, 2, v55
	v_mad_u32_u24 v17, v16, s2, 0
	v_and_b32_e32 v42, 60, v14
	v_mad_u64_u32 v[44:45], s[10:11], v209, s45, v[22:23]
	v_mad_u64_u32 v[46:47], s[10:11], v206, s45, v[22:23]
	v_lshrrev_b32_e32 v56, 4, v1
	v_and_b32_e32 v22, 15, v1
	v_add_u32_e32 v154, v19, v7
	v_add_u32_e32 v18, 0x1100, v17
	;; [unrolled: 1-line block ×4, first 2 shown]
	v_lshlrev_b32_e32 v14, 2, v42
	v_lshl_or_b32 v1, v56, 5, v22
	v_mul_lo_u32 v4, s38, v16
	v_add_u32_e32 v191, v17, v14
	v_add_u32_e32 v193, v18, v14
	;; [unrolled: 1-line block ×4, first 2 shown]
	v_mul_lo_u32 v14, s34, v16
	v_accvgpr_write_b32 a10, v22
	v_mul_u32_u24_e32 v22, 0x110, v1
	v_mad_u32_u24 v1, v1, s6, v30
	v_add_u32_e32 v6, s4, v4
	v_lshlrev_b32_e32 v40, 4, v32
	v_add_u32_e32 v16, s3, v14
	v_lshl_add_u32 v1, v1, 2, 0
	v_add_u32_e32 v8, s4, v6
	v_add_u32_e32 v192, v18, v40
	;; [unrolled: 1-line block ×3, first 2 shown]
	v_accvgpr_write_b32 a12, v1
	v_add_u32_e32 v1, 4, v55
	v_add_u32_e32 v2, s4, v8
	;; [unrolled: 1-line block ×4, first 2 shown]
	v_cmp_eq_u32_e64 s[2:3], 0, v200
	v_accvgpr_write_b32 a9, v200
	v_cmp_eq_u32_e64 s[4:5], 1, v200
	v_mul_u32_u24_e32 v200, 0x110, v24
	v_accvgpr_write_b32 a11, v22
	v_lshrrev_b32_e32 v22, 4, v1
	v_and_b32_e32 v24, 15, v1
	v_lshl_or_b32 v1, v22, 5, v24
	v_accvgpr_write_b32 a13, v22
	v_mul_u32_u24_e32 v22, 0x110, v1
	v_mad_u32_u24 v1, v1, s6, v30
	v_lshl_add_u32 v1, v1, 2, 0
	v_accvgpr_write_b32 a16, v1
	v_add_u32_e32 v1, 6, v55
	v_accvgpr_write_b32 a14, v24
	v_accvgpr_write_b32 a15, v22
	v_lshrrev_b32_e32 v22, 4, v1
	v_and_b32_e32 v24, 15, v1
	v_lshl_or_b32 v1, v22, 5, v24
	v_accvgpr_write_b32 a17, v22
	v_mul_u32_u24_e32 v22, 0x110, v1
	v_mad_u32_u24 v1, v1, s6, v30
	v_lshl_add_u32 v1, v1, 2, 0
	v_accvgpr_write_b32 a20, v1
	v_add_u32_e32 v1, 8, v55
	v_accvgpr_write_b32 a18, v24
	;; [unrolled: 11-line block ×5, first 2 shown]
	v_accvgpr_write_b32 a31, v22
	v_lshrrev_b32_e32 v22, 4, v1
	v_and_b32_e32 v24, 15, v1
	v_lshl_or_b32 v1, v22, 5, v24
	v_accvgpr_write_b32 a33, v22
	v_mul_u32_u24_e32 v22, 0x110, v1
	v_mad_u32_u24 v1, v1, s6, v30
	v_lshl_add_u32 v1, v1, 2, 0
	v_accvgpr_write_b32 a36, v1
	v_add_u32_e32 v1, 16, v55
	v_lshrrev_b32_e32 v1, 4, v1
	v_accvgpr_write_b32 a37, v1
	v_lshl_or_b32 v1, v1, 5, v50
	v_accvgpr_write_b32 a35, v22
	v_mul_u32_u24_e32 v22, 0x110, v1
	v_mad_u32_u24 v1, v1, s6, v30
	v_lshl_add_u32 v1, v1, 2, 0
	v_accvgpr_write_b32 a39, v1
	v_add_u32_e32 v1, 18, v55
	v_accvgpr_write_b32 a34, v24
	v_accvgpr_write_b32 a38, v22
	v_lshrrev_b32_e32 v22, 4, v1
	v_and_b32_e32 v24, 15, v1
	v_lshl_or_b32 v1, v22, 5, v24
	v_accvgpr_write_b32 a40, v22
	v_mul_u32_u24_e32 v22, 0x110, v1
	v_mad_u32_u24 v1, v1, s6, v30
	v_lshl_add_u32 v1, v1, 2, 0
	v_accvgpr_write_b32 a43, v1
	v_add_u32_e32 v1, 20, v55
	v_accvgpr_write_b32 a42, v24
	v_accvgpr_write_b32 a41, v22
	v_lshrrev_b32_e32 v22, 4, v1
	v_and_b32_e32 v24, 15, v1
	;; [unrolled: 11-line block ×7, first 2 shown]
	v_lshl_or_b32 v1, v22, 5, v24
	v_accvgpr_write_b32 a64, v22
	v_mul_u32_u24_e32 v22, 0x110, v1
	v_mad_u32_u24 v1, v1, s6, v30
	s_ashr_i32 s6, s58, 31
	v_mul_f32_e32 v3, 0x4f7ffffe, v3
	v_lshl_add_u32 v1, v1, 2, 0
	v_writelane_b32 v255, s6, 18
	s_sub_i32 s6, 0, s59
	v_cvt_u32_f32_e32 v3, v3
	v_accvgpr_write_b32 a67, v1
	v_mad_u32_u24 v1, v57, s15, v30
	s_mul_i32 s6, s6, s7
	v_lshl_add_u32 v254, v1, 2, 0
	s_mul_hi_u32 s6, s7, s6
	v_lshlrev_b32_e32 v1, 2, v23
	v_add_u32_e32 v198, 64, v15
	v_add_u32_e32 v199, 0x44, v15
	v_ashrrev_i32_e32 v15, 31, v14
	v_accvgpr_write_b32 a65, v22
	s_add_i32 s6, s7, s6
	v_mov_b32_e32 v22, s23
	v_add_co_u32_e32 v250, vcc, s22, v1
	v_writelane_b32 v255, s6, 19
	s_ashr_i32 s6, s53, 31
	v_addc_co_u32_e32 v251, vcc, 0, v22, vcc
	v_lshlrev_b64 v[80:81], 2, v[14:15]
	v_readfirstlane_b32 s9, v3
	v_add_u32_e32 v190, v17, v40
	v_ashrrev_i32_e32 v17, 31, v16
	v_writelane_b32 v255, s6, 20
	s_sub_i32 s6, 0, s86
	v_mov_b32_e32 v1, s21
	v_add_co_u32_e32 v247, vcc, s20, v80
	s_mul_i32 s6, s6, s9
	v_addc_co_u32_e32 v248, vcc, v1, v81, vcc
	v_lshlrev_b64 v[82:83], 2, v[16:17]
	v_add_u32_e32 v194, v19, v40
	v_ashrrev_i32_e32 v19, 31, v18
	s_mul_hi_u32 s6, s9, s6
	v_add_co_u32_e32 v244, vcc, s20, v82
	s_add_i32 s94, s9, s6
	s_sub_i32 s6, 0, s87
	v_addc_co_u32_e32 v245, vcc, v1, v83, vcc
	v_lshlrev_b64 v[84:85], 2, v[18:19]
	v_ashrrev_i32_e32 v21, 31, v20
	s_mul_i32 s6, s6, s8
	v_add_co_u32_e32 v241, vcc, s20, v84
	s_mul_hi_u32 s6, s8, s6
	v_addc_co_u32_e32 v242, vcc, v1, v85, vcc
	v_lshlrev_b64 v[86:87], 2, v[20:21]
	s_add_i32 s58, s8, s6
	s_mov_b32 s6, s46
	v_add_co_u32_e32 v238, vcc, s20, v86
	v_mul_lo_u32 v10, s38, v10
	v_writelane_b32 v255, s6, 21
	v_addc_co_u32_e32 v239, vcc, v1, v87, vcc
	v_and_b32_e32 v1, 7, v30
	v_ashrrev_i32_e32 v11, 31, v10
	v_writelane_b32 v255, s7, 22
	s_lshl_b64 s[6:7], s[46:47], 1
	v_lshlrev_b32_e32 v1, 4, v1
	v_writelane_b32 v255, s6, 23
	v_lshlrev_b64 v[88:89], 2, v[10:11]
	v_mov_b32_e32 v10, s19
	v_add_co_u32_e32 v1, vcc, s18, v1
	v_writelane_b32 v255, s7, 24
	v_addc_co_u32_e32 v10, vcc, 0, v10, vcc
	s_movk_i32 s6, 0x100
	v_ashrrev_i32_e32 v5, 31, v4
	v_add_co_u32_e32 v235, vcc, s6, v1
	v_addc_co_u32_e32 v236, vcc, 0, v10, vcc
	v_lshlrev_b64 v[92:93], 2, v[4:5]
	v_ashrrev_i32_e32 v7, 31, v6
	v_mov_b32_e32 v1, s19
	v_add_co_u32_e32 v232, vcc, s18, v92
	v_addc_co_u32_e32 v233, vcc, v1, v93, vcc
	v_lshlrev_b64 v[94:95], 2, v[6:7]
	v_ashrrev_i32_e32 v9, 31, v8
	v_add_co_u32_e32 v229, vcc, s18, v94
	v_addc_co_u32_e32 v230, vcc, v1, v95, vcc
	v_lshlrev_b64 v[96:97], 2, v[8:9]
	v_ashrrev_i32_e32 v3, 31, v2
	v_add_co_u32_e32 v226, vcc, s18, v96
	v_addc_co_u32_e32 v227, vcc, v1, v97, vcc
	v_lshlrev_b64 v[98:99], 2, v[2:3]
	v_mul_lo_u32 v12, s38, v12
	v_add_co_u32_e32 v223, vcc, s18, v98
	v_ashrrev_i32_e32 v13, 31, v12
	v_addc_co_u32_e32 v224, vcc, v1, v99, vcc
	v_mbcnt_lo_u32_b32 v1, -1, 0
	v_and_b32_e32 v78, 15, v77
	v_and_b32_e32 v74, 15, v75
	;; [unrolled: 1-line block ×6, first 2 shown]
	s_movk_i32 s90, 0x80
	v_cmp_gt_u32_e64 s[12:13], 16, v30
	v_accvgpr_write_b32 a66, v24
	s_ashr_i32 s95, s44, 31
	s_lshl_b64 s[70:71], s[34:35], 8
	s_lshl_b64 s[72:73], s[38:39], 8
	v_lshlrev_b64 v[90:91], 2, v[12:13]
	s_mov_b32 s47, 0x3fb8aa3b
	s_mov_b32 s69, 0xc2ce8ed0
	;; [unrolled: 1-line block ×5, first 2 shown]
	v_mbcnt_hi_u32_b32 v252, -1, v1
	v_mov_b32_e32 v253, 0
	v_lshrrev_b32_e32 v249, 4, v77
	v_lshrrev_b32_e32 v76, 4, v75
	;; [unrolled: 1-line block ×8, first 2 shown]
	v_mov_b32_e32 v221, 0x7f800000
	v_lshlrev_b32_e32 v100, 2, v32
	v_mad_u64_u32 v[102:103], s[8:9], v71, s45, v[30:31]
	v_mad_u64_u32 v[104:105], s[8:9], v78, s45, v[30:31]
	;; [unrolled: 1-line block ×6, first 2 shown]
	v_writelane_b32 v255, s45, 25
	v_mad_u64_u32 v[114:115], s[8:9], v234, s45, v[30:31]
	s_branch .LBB0_15
.LBB0_13:                               ;   in Loop: Header=BB0_15 Depth=1
	s_or_b64 exec, exec, s[74:75]
	s_barrier
.LBB0_14:                               ;   in Loop: Header=BB0_15 Depth=1
	s_add_i32 s8, s56, s84
	s_abs_i32 s10, s8
	s_mul_hi_u32 s11, s10, s52
	s_mul_i32 s11, s11, s85
	s_sub_i32 s10, s10, s11
	s_ashr_i32 s9, s8, 31
	s_sub_i32 s11, s10, s85
	s_cmp_ge_u32 s10, s85
	s_cselect_b32 s10, s11, s10
	s_sub_i32 s11, s10, s85
	s_cmp_ge_u32 s10, s85
	s_cselect_b32 s10, s11, s10
	s_xor_b32 s10, s10, s9
	s_sub_i32 s9, s9, s10
	s_add_i32 s56, s8, s9
	s_sub_i32 s8, s60, s56
	s_min_i32 s80, s84, s8
	s_cmp_gt_i32 s60, s56
	s_cselect_b64 s[10:11], -1, 0
	s_cmp_le_i32 s84, s8
	s_cselect_b64 s[8:9], -1, 0
	s_and_b64 s[8:9], s[8:9], s[10:11]
	s_mov_b32 s76, 0
	s_and_b64 vcc, exec, s[8:9]
	s_cbranch_vccz .LBB0_310
.LBB0_15:                               ; =>This Loop Header: Depth=1
                                        ;     Child Loop BB0_217 Depth 2
                                        ;     Child Loop BB0_69 Depth 2
	s_ashr_i32 s8, s56, 31
	v_readlane_b32 s9, v255, 18
	s_xor_b32 s8, s8, s9
	s_abs_i32 s9, s56
	v_readlane_b32 s10, v255, 19
	s_mul_hi_u32 s10, s9, s10
	s_mul_i32 s11, s10, s59
	s_sub_i32 s9, s9, s11
	s_add_i32 s11, s10, 1
	s_sub_i32 s14, s9, s59
	s_cmp_ge_u32 s9, s59
	s_cselect_b32 s10, s11, s10
	s_cselect_b32 s9, s14, s9
	s_add_i32 s11, s10, 1
	s_cmp_ge_u32 s9, s59
	s_cselect_b32 s9, s11, s10
	s_xor_b32 s9, s9, s8
	s_sub_i32 s8, s9, s8
	v_readlane_b32 s9, v255, 3
	s_mul_i32 s9, s8, s9
	s_sub_i32 s10, s56, s9
	s_ashr_i32 s9, s10, 31
	v_readlane_b32 s11, v255, 20
	s_xor_b32 s9, s9, s11
	s_abs_i32 s11, s10
	s_mul_hi_u32 s14, s11, s94
	s_mul_i32 s15, s14, s86
	s_sub_i32 s11, s11, s15
	s_add_i32 s15, s14, 1
	s_sub_i32 s44, s11, s86
	s_cmp_ge_u32 s11, s86
	s_cselect_b32 s14, s15, s14
	s_cselect_b32 s11, s44, s11
	s_add_i32 s15, s14, 1
	s_cmp_ge_u32 s11, s86
	s_cselect_b32 s11, s15, s14
	s_xor_b32 s11, s11, s9
	s_sub_i32 s9, s11, s9
	v_readlane_b32 s11, v255, 2
	s_mul_i32 s11, s9, s11
	s_sub_i32 s11, s10, s11
	s_abs_i32 s14, s11
	s_mul_hi_u32 s15, s14, s58
	s_mul_i32 s44, s15, s87
	s_ashr_i32 s10, s11, 31
	s_sub_i32 s14, s14, s44
	s_xor_b32 s10, s10, s95
	s_add_i32 s44, s15, 1
	s_sub_i32 s45, s14, s87
	s_cmp_ge_u32 s14, s87
	s_cselect_b32 s15, s44, s15
	s_cselect_b32 s14, s45, s14
	s_add_i32 s44, s15, 1
	s_cmp_ge_u32 s14, s87
	s_cselect_b32 s14, s44, s15
	s_xor_b32 s14, s14, s10
	s_sub_i32 s10, s14, s10
	v_readlane_b32 s14, v255, 1
	s_mul_i32 s14, s10, s14
	s_sub_i32 s11, s11, s14
	s_ashr_i32 s14, s11, 31
	s_abs_i32 s11, s11
	s_mul_hi_u32 s15, s11, s52
	s_mul_i32 s44, s15, s85
	s_sub_i32 s11, s11, s44
	s_xor_b32 s14, s14, s42
	s_add_i32 s44, s15, 1
	s_sub_i32 s45, s11, s85
	s_cmp_ge_u32 s11, s85
	s_cselect_b32 s15, s44, s15
	s_cselect_b32 s11, s45, s11
	s_add_i32 s44, s15, 1
	s_cmp_ge_u32 s11, s85
	s_cselect_b32 s11, s44, s15
	v_readlane_b32 s44, v255, 11
	s_xor_b32 s11, s11, s14
	v_readlane_b32 s45, v255, 12
	s_andn2_b64 vcc, exec, s[44:45]
	s_sub_i32 s81, s11, s14
	s_cbranch_vccnz .LBB0_17
; %bb.16:                               ;   in Loop: Header=BB0_15 Depth=1
	v_readlane_b32 s11, v255, 0
	s_mul_i32 s11, s8, s11
	s_add_i32 s14, s81, s11
	s_ashr_i32 s15, s14, 31
	s_lshl_b64 s[14:15], s[14:15], 2
	s_add_u32 s14, s26, s14
	s_addc_u32 s15, s27, s15
	global_load_dword v1, v253, s[14:15]
	s_waitcnt vmcnt(0)
	v_readfirstlane_b32 s11, v1
	s_ashr_i32 s14, s11, 31
	s_lshr_b32 s14, s14, 26
	s_add_i32 s11, s11, s14
	s_ashr_i32 s11, s11, 6
	s_min_i32 s80, s80, s11
.LBB0_17:                               ;   in Loop: Header=BB0_15 Depth=1
	s_mul_i32 s11, s9, s33
	s_lshl_b32 s61, s10, 4
	s_add_i32 s10, s61, s11
	s_mul_i32 s11, s8, s55
	s_ashr_i32 s14, s11, 31
	s_add_u32 s11, s16, s11
	s_mul_i32 s15, s10, s54
	s_addc_u32 s14, s17, s14
	s_ashr_i32 s44, s15, 31
	s_add_u32 s67, s11, s15
	s_addc_u32 s44, s14, s44
	s_ashr_i32 s11, s8, 31
	s_mul_i32 s14, s8, s41
	s_mul_hi_u32 s15, s8, s40
	s_add_i32 s14, s15, s14
	s_mul_i32 s15, s11, s40
	v_readlane_b32 s74, v255, 6
	s_add_i32 s46, s14, s15
	s_mul_i32 s64, s8, s40
	v_readlane_b32 s75, v255, 7
	s_add_u32 s14, s18, s64
	s_mul_i32 s65, s9, s75
	s_addc_u32 s15, s19, s46
	s_ashr_i32 s66, s65, 31
	s_add_u32 s82, s14, s65
	s_addc_u32 s83, s15, s66
	s_abs_i32 s14, s8
	v_mul_hi_u32 v1, s14, v189
	v_mul_lo_u32 v1, v1, s88
	v_sub_u32_e32 v1, s14, v1
	s_mul_i32 s14, s36, s37
	s_mul_i32 s14, s14, s8
	v_subrev_u32_e32 v2, s88, v1
	v_cmp_le_u32_e32 vcc, s88, v1
	s_add_i32 s14, s10, s14
	v_cndmask_b32_e32 v1, v1, v2, vcc
	s_lshl_b32 s62, s14, 6
	v_subrev_u32_e32 v2, s88, v1
	v_cmp_le_u32_e32 vcc, s88, v1
	s_lshl_b64 s[14:15], s[62:63], 3
	v_cndmask_b32_e32 v1, v1, v2, vcc
	s_add_u32 s53, s28, s14
	v_xor_b32_e32 v1, s11, v1
	s_addc_u32 s89, s29, s15
	s_mul_i32 s14, s8, s49
	s_mul_hi_u32 s15, s8, s48
	v_subrev_u32_e32 v1, s11, v1
	s_add_i32 s14, s15, s14
	s_mul_i32 s11, s11, s48
	s_add_i32 s45, s14, s11
	s_mul_i32 s62, s8, s48
	s_add_u32 s8, s20, s62
	s_mul_i32 s91, s9, s43
	s_addc_u32 s11, s21, s45
	s_ashr_i32 s92, s91, 31
	s_add_u32 s8, s8, s91
	s_addc_u32 s9, s11, s92
	s_ashr_i32 s11, s10, 31
	s_lshl_b64 s[10:11], s[10:11], 2
	v_ashrrev_i32_e32 v2, 31, v1
	v_mul_lo_u32 v3, v1, s51
	v_mul_hi_u32 v4, v1, s50
	s_add_u32 s14, s24, s10
	v_add_u32_e32 v3, v4, v3
	v_mul_lo_u32 v2, v2, s50
	v_mul_lo_u32 v26, v1, s50
	s_addc_u32 s15, s25, s11
	v_readlane_b32 s10, v255, 9
	v_add_u32_e32 v27, v3, v2
	v_mov_b32_e32 v1, s23
	v_add_co_u32_e32 v103, vcc, s22, v26
	v_readlane_b32 s11, v255, 10
	v_addc_co_u32_e32 v105, vcc, v1, v27, vcc
	s_and_b64 s[10:11], s[10:11], exec
	v_or_b32_e32 v29, s61, v71
	s_cselect_b32 s75, 0, s15
	s_cselect_b32 s74, 0, s14
	s_cmp_lg_u32 s76, 0
	v_cmp_gt_i32_e32 vcc, s33, v29
	s_cbranch_scc0 .LBB0_71
; %bb.18:                               ;   in Loop: Header=BB0_15 Depth=1
	s_lshl_b32 s93, s81, 1
	v_add_u32_e32 v1, s93, v79
	v_cmp_le_i32_e64 s[10:11], s36, v1
	s_xor_b64 s[14:15], vcc, -1
	s_or_b64 s[10:11], s[10:11], s[14:15]
	s_and_saveexec_b64 s[78:79], s[10:11]
	s_xor_b64 s[10:11], exec, s[78:79]
	s_cbranch_execz .LBB0_20
; %bb.19:                               ;   in Loop: Header=BB0_15 Depth=1
	ds_write_b32 v203, v253
                                        ; implicit-def: $vgpr1
.LBB0_20:                               ;   in Loop: Header=BB0_15 Depth=1
	s_andn2_saveexec_b64 s[10:11], s[10:11]
	s_cbranch_execz .LBB0_22
; %bb.21:                               ;   in Loop: Header=BB0_15 Depth=1
	v_mad_u64_u32 v[2:3], s[78:79], v1, s57, v[102:103]
	v_ashrrev_i32_e32 v3, 31, v2
	v_lshlrev_b64 v[2:3], 3, v[2:3]
	v_mov_b32_e32 v1, s44
	v_add_co_u32_e32 v2, vcc, s67, v2
	v_addc_co_u32_e32 v3, vcc, v1, v3, vcc
	global_load_dwordx2 v[2:3], v[2:3], off
	s_waitcnt vmcnt(0)
	v_cvt_f16_f32_e32 v1, v2
	v_cvt_f16_f32_e32 v2, v3
	v_pack_b32_f16 v1, v1, v2
	v_pk_mul_f16 v1, v51, v1
	ds_write_b32 v203, v1
.LBB0_22:                               ;   in Loop: Header=BB0_15 Depth=1
	s_or_b64 exec, exec, s[10:11]
	v_add_u32_e32 v1, s93, v249
	v_or_b32_e32 v2, s61, v78
	v_cmp_le_i32_e32 vcc, s36, v1
	v_cmp_le_i32_e64 s[10:11], s33, v2
	s_or_b64 s[10:11], vcc, s[10:11]
	s_and_saveexec_b64 s[78:79], s[10:11]
	s_xor_b64 s[10:11], exec, s[78:79]
	s_cbranch_execz .LBB0_24
; %bb.23:                               ;   in Loop: Header=BB0_15 Depth=1
	ds_write_b32 v203, v253 offset:1600
                                        ; implicit-def: $vgpr1
.LBB0_24:                               ;   in Loop: Header=BB0_15 Depth=1
	s_andn2_saveexec_b64 s[10:11], s[10:11]
	s_cbranch_execz .LBB0_26
; %bb.25:                               ;   in Loop: Header=BB0_15 Depth=1
	v_mad_u64_u32 v[2:3], s[78:79], v1, s57, v[104:105]
	v_ashrrev_i32_e32 v3, 31, v2
	v_lshlrev_b64 v[2:3], 3, v[2:3]
	v_mov_b32_e32 v1, s44
	v_add_co_u32_e32 v2, vcc, s67, v2
	v_addc_co_u32_e32 v3, vcc, v1, v3, vcc
	global_load_dwordx2 v[2:3], v[2:3], off
	s_waitcnt vmcnt(0)
	v_cvt_f16_f32_e32 v1, v2
	v_cvt_f16_f32_e32 v2, v3
	v_pack_b32_f16 v1, v1, v2
	v_pk_mul_f16 v1, v51, v1
	ds_write_b32 v203, v1 offset:1600
.LBB0_26:                               ;   in Loop: Header=BB0_15 Depth=1
	s_or_b64 exec, exec, s[10:11]
	v_add_u32_e32 v1, s93, v76
	v_or_b32_e32 v2, s61, v74
	v_cmp_le_i32_e32 vcc, s36, v1
	v_cmp_le_i32_e64 s[10:11], s33, v2
	s_or_b64 s[10:11], vcc, s[10:11]
	s_and_saveexec_b64 s[78:79], s[10:11]
	s_xor_b64 s[10:11], exec, s[78:79]
	s_cbranch_execz .LBB0_28
; %bb.27:                               ;   in Loop: Header=BB0_15 Depth=1
	ds_write_b32 v203, v253 offset:3200
                                        ; implicit-def: $vgpr1
.LBB0_28:                               ;   in Loop: Header=BB0_15 Depth=1
	s_andn2_saveexec_b64 s[10:11], s[10:11]
	s_cbranch_execz .LBB0_30
; %bb.29:                               ;   in Loop: Header=BB0_15 Depth=1
	v_mad_u64_u32 v[2:3], s[78:79], v1, s57, v[106:107]
	v_ashrrev_i32_e32 v3, 31, v2
	v_lshlrev_b64 v[2:3], 3, v[2:3]
	v_mov_b32_e32 v1, s44
	v_add_co_u32_e32 v2, vcc, s67, v2
	v_addc_co_u32_e32 v3, vcc, v1, v3, vcc
	global_load_dwordx2 v[2:3], v[2:3], off
	s_waitcnt vmcnt(0)
	v_cvt_f16_f32_e32 v1, v2
	v_cvt_f16_f32_e32 v2, v3
	v_pack_b32_f16 v1, v1, v2
	v_pk_mul_f16 v1, v51, v1
	ds_write_b32 v203, v1 offset:3200
.LBB0_30:                               ;   in Loop: Header=BB0_15 Depth=1
	;; [unrolled: 30-line block ×3, first 2 shown]
	s_or_b64 exec, exec, s[10:11]
	v_add_u32_e32 v1, s93, v243
	v_cmp_le_i32_e32 vcc, s36, v1
	s_or_b64 s[10:11], vcc, s[14:15]
	s_and_saveexec_b64 s[14:15], s[10:11]
	s_xor_b64 s[10:11], exec, s[14:15]
	s_cbranch_execz .LBB0_36
; %bb.35:                               ;   in Loop: Header=BB0_15 Depth=1
	ds_write_b32 v203, v253 offset:6400
                                        ; implicit-def: $vgpr1
.LBB0_36:                               ;   in Loop: Header=BB0_15 Depth=1
	s_andn2_saveexec_b64 s[10:11], s[10:11]
	s_cbranch_execz .LBB0_38
; %bb.37:                               ;   in Loop: Header=BB0_15 Depth=1
	v_mad_u64_u32 v[2:3], s[14:15], v1, s57, v[102:103]
	v_ashrrev_i32_e32 v3, 31, v2
	v_lshlrev_b64 v[2:3], 3, v[2:3]
	v_mov_b32_e32 v1, s44
	v_add_co_u32_e32 v2, vcc, s67, v2
	v_addc_co_u32_e32 v3, vcc, v1, v3, vcc
	global_load_dwordx2 v[2:3], v[2:3], off
	s_waitcnt vmcnt(0)
	v_cvt_f16_f32_e32 v1, v2
	v_cvt_f16_f32_e32 v2, v3
	v_pack_b32_f16 v1, v1, v2
	v_pk_mul_f16 v1, v51, v1
	ds_write_b32 v203, v1 offset:6400
.LBB0_38:                               ;   in Loop: Header=BB0_15 Depth=1
	s_or_b64 exec, exec, s[10:11]
	v_add_u32_e32 v1, s93, v70
	v_or_b32_e32 v2, s61, v240
	v_cmp_le_i32_e32 vcc, s36, v1
	v_cmp_le_i32_e64 s[10:11], s33, v2
	s_or_b64 s[10:11], vcc, s[10:11]
	s_and_saveexec_b64 s[14:15], s[10:11]
	s_xor_b64 s[10:11], exec, s[14:15]
	s_cbranch_execz .LBB0_40
; %bb.39:                               ;   in Loop: Header=BB0_15 Depth=1
	ds_write_b32 v203, v253 offset:8000
                                        ; implicit-def: $vgpr1
.LBB0_40:                               ;   in Loop: Header=BB0_15 Depth=1
	s_andn2_saveexec_b64 s[10:11], s[10:11]
	s_cbranch_execz .LBB0_42
; %bb.41:                               ;   in Loop: Header=BB0_15 Depth=1
	v_mad_u64_u32 v[2:3], s[14:15], v1, s57, v[110:111]
	v_ashrrev_i32_e32 v3, 31, v2
	v_lshlrev_b64 v[2:3], 3, v[2:3]
	v_mov_b32_e32 v1, s44
	v_add_co_u32_e32 v2, vcc, s67, v2
	v_addc_co_u32_e32 v3, vcc, v1, v3, vcc
	global_load_dwordx2 v[2:3], v[2:3], off
	s_waitcnt vmcnt(0)
	v_cvt_f16_f32_e32 v1, v2
	v_cvt_f16_f32_e32 v2, v3
	v_pack_b32_f16 v1, v1, v2
	v_pk_mul_f16 v1, v51, v1
	ds_write_b32 v203, v1 offset:8000
.LBB0_42:                               ;   in Loop: Header=BB0_15 Depth=1
	s_or_b64 exec, exec, s[10:11]
	v_add_u32_e32 v1, s93, v68
	v_or_b32_e32 v2, s61, v237
	v_cmp_le_i32_e32 vcc, s36, v1
	v_cmp_le_i32_e64 s[10:11], s33, v2
	;; [unrolled: 30-line block ×3, first 2 shown]
	s_or_b64 s[10:11], vcc, s[10:11]
	s_and_saveexec_b64 s[14:15], s[10:11]
	s_xor_b64 s[10:11], exec, s[14:15]
	s_cbranch_execz .LBB0_48
; %bb.47:                               ;   in Loop: Header=BB0_15 Depth=1
	ds_write_b32 v203, v253 offset:11200
                                        ; implicit-def: $vgpr1
.LBB0_48:                               ;   in Loop: Header=BB0_15 Depth=1
	s_andn2_saveexec_b64 s[10:11], s[10:11]
	s_cbranch_execz .LBB0_50
; %bb.49:                               ;   in Loop: Header=BB0_15 Depth=1
	v_mad_u64_u32 v[2:3], s[14:15], v1, s57, v[114:115]
	v_ashrrev_i32_e32 v3, 31, v2
	v_lshlrev_b64 v[2:3], 3, v[2:3]
	v_mov_b32_e32 v1, s44
	v_add_co_u32_e32 v2, vcc, s67, v2
	v_addc_co_u32_e32 v3, vcc, v1, v3, vcc
	global_load_dwordx2 v[2:3], v[2:3], off
	s_waitcnt vmcnt(0)
	v_cvt_f16_f32_e32 v1, v2
	v_cvt_f16_f32_e32 v2, v3
	v_pack_b32_f16 v1, v1, v2
	v_pk_mul_f16 v1, v51, v1
	ds_write_b32 v203, v1 offset:11200
.LBB0_50:                               ;   in Loop: Header=BB0_15 Depth=1
	s_or_b64 exec, exec, s[10:11]
	v_or_b32_e32 v2, s61, v209
	v_add_u32_e32 v1, s93, v208
	v_cmp_gt_i32_e64 s[10:11], s33, v2
	v_cmp_le_i32_e32 vcc, s36, v1
	s_xor_b64 s[14:15], s[10:11], -1
	s_or_b64 s[10:11], vcc, s[14:15]
	s_and_saveexec_b64 s[78:79], s[10:11]
	s_xor_b64 s[10:11], exec, s[78:79]
	s_cbranch_execz .LBB0_52
; %bb.51:                               ;   in Loop: Header=BB0_15 Depth=1
	ds_write_b32 v204, v253 offset:256
                                        ; implicit-def: $vgpr1
.LBB0_52:                               ;   in Loop: Header=BB0_15 Depth=1
	s_andn2_saveexec_b64 s[10:11], s[10:11]
	s_cbranch_execz .LBB0_54
; %bb.53:                               ;   in Loop: Header=BB0_15 Depth=1
	v_mad_u64_u32 v[2:3], s[78:79], v1, s57, v[44:45]
	v_ashrrev_i32_e32 v3, 31, v2
	v_lshlrev_b64 v[2:3], 3, v[2:3]
	v_mov_b32_e32 v1, s44
	v_add_co_u32_e32 v2, vcc, s67, v2
	v_addc_co_u32_e32 v3, vcc, v1, v3, vcc
	global_load_dwordx2 v[2:3], v[2:3], off
	s_waitcnt vmcnt(0)
	v_cvt_f16_f32_e32 v1, v2
	v_cvt_f16_f32_e32 v2, v3
	v_pack_b32_f16 v1, v1, v2
	v_pk_mul_f16 v1, v51, v1
	ds_write_b32 v204, v1 offset:256
.LBB0_54:                               ;   in Loop: Header=BB0_15 Depth=1
	s_or_b64 exec, exec, s[10:11]
	v_add_u32_e32 v1, s93, v205
	v_or_b32_e32 v2, s61, v206
	v_cmp_le_i32_e32 vcc, s36, v1
	v_cmp_le_i32_e64 s[10:11], s33, v2
	s_or_b64 s[10:11], vcc, s[10:11]
	s_and_saveexec_b64 s[78:79], s[10:11]
	s_xor_b64 s[10:11], exec, s[78:79]
	s_cbranch_execz .LBB0_56
; %bb.55:                               ;   in Loop: Header=BB0_15 Depth=1
	ds_write_b32 v204, v253 offset:3456
                                        ; implicit-def: $vgpr1
.LBB0_56:                               ;   in Loop: Header=BB0_15 Depth=1
	s_andn2_saveexec_b64 s[10:11], s[10:11]
	s_cbranch_execz .LBB0_58
; %bb.57:                               ;   in Loop: Header=BB0_15 Depth=1
	v_mad_u64_u32 v[2:3], s[78:79], v1, s57, v[46:47]
	v_ashrrev_i32_e32 v3, 31, v2
	v_lshlrev_b64 v[2:3], 3, v[2:3]
	v_mov_b32_e32 v1, s44
	v_add_co_u32_e32 v2, vcc, s67, v2
	v_addc_co_u32_e32 v3, vcc, v1, v3, vcc
	global_load_dwordx2 v[2:3], v[2:3], off
	s_waitcnt vmcnt(0)
	v_cvt_f16_f32_e32 v1, v2
	v_cvt_f16_f32_e32 v2, v3
	v_pack_b32_f16 v1, v1, v2
	v_pk_mul_f16 v1, v51, v1
	ds_write_b32 v204, v1 offset:3456
.LBB0_58:                               ;   in Loop: Header=BB0_15 Depth=1
	s_or_b64 exec, exec, s[10:11]
	v_add_u32_e32 v1, s93, v207
	v_cmp_le_i32_e32 vcc, s36, v1
	s_or_b64 s[10:11], vcc, s[14:15]
	s_and_saveexec_b64 s[14:15], s[10:11]
	s_xor_b64 s[10:11], exec, s[14:15]
	s_cbranch_execz .LBB0_60
; %bb.59:                               ;   in Loop: Header=BB0_15 Depth=1
	ds_write_b32 v204, v253 offset:6656
                                        ; implicit-def: $vgpr1
.LBB0_60:                               ;   in Loop: Header=BB0_15 Depth=1
	s_andn2_saveexec_b64 s[10:11], s[10:11]
	s_cbranch_execz .LBB0_62
; %bb.61:                               ;   in Loop: Header=BB0_15 Depth=1
	v_mad_u64_u32 v[2:3], s[14:15], v1, s57, v[44:45]
	v_ashrrev_i32_e32 v3, 31, v2
	v_lshlrev_b64 v[2:3], 3, v[2:3]
	v_mov_b32_e32 v1, s44
	v_add_co_u32_e32 v2, vcc, s67, v2
	v_addc_co_u32_e32 v3, vcc, v1, v3, vcc
	global_load_dwordx2 v[2:3], v[2:3], off
	s_waitcnt vmcnt(0)
	v_cvt_f16_f32_e32 v1, v2
	v_cvt_f16_f32_e32 v2, v3
	v_pack_b32_f16 v1, v1, v2
	v_pk_mul_f16 v1, v51, v1
	ds_write_b32 v204, v1 offset:6656
.LBB0_62:                               ;   in Loop: Header=BB0_15 Depth=1
	s_or_b64 exec, exec, s[10:11]
	v_add_u32_e32 v1, s93, v210
	v_or_b32_e32 v2, s61, v211
	v_cmp_le_i32_e32 vcc, s36, v1
	v_cmp_le_i32_e64 s[10:11], s33, v2
	s_or_b64 s[10:11], vcc, s[10:11]
	s_and_saveexec_b64 s[14:15], s[10:11]
	s_xor_b64 s[10:11], exec, s[14:15]
	s_cbranch_execz .LBB0_64
; %bb.63:                               ;   in Loop: Header=BB0_15 Depth=1
	ds_write_b32 v204, v253 offset:9856
                                        ; implicit-def: $vgpr1
.LBB0_64:                               ;   in Loop: Header=BB0_15 Depth=1
	s_andn2_saveexec_b64 s[10:11], s[10:11]
	s_cbranch_execz .LBB0_66
; %bb.65:                               ;   in Loop: Header=BB0_15 Depth=1
	v_mad_u64_u32 v[2:3], s[14:15], v1, s57, v[48:49]
	v_ashrrev_i32_e32 v3, 31, v2
	v_lshlrev_b64 v[2:3], 3, v[2:3]
	v_mov_b32_e32 v1, s44
	v_add_co_u32_e32 v2, vcc, s67, v2
	v_addc_co_u32_e32 v3, vcc, v1, v3, vcc
	global_load_dwordx2 v[2:3], v[2:3], off
	s_waitcnt vmcnt(0)
	v_cvt_f16_f32_e32 v1, v2
	v_cvt_f16_f32_e32 v2, v3
	v_pack_b32_f16 v1, v1, v2
	v_pk_mul_f16 v1, v51, v1
	ds_write_b32 v204, v1 offset:9856
.LBB0_66:                               ;   in Loop: Header=BB0_15 Depth=1
	s_or_b64 exec, exec, s[10:11]
	s_waitcnt lgkmcnt(0)
	s_barrier
	ds_read2_b64 v[14:17], v125 offset1:4
	ds_read2_b64 v[10:13], v125 offset0:8 offset1:12
	ds_read2_b64 v[6:9], v125 offset0:16 offset1:20
	;; [unrolled: 1-line block ×5, first 2 shown]
	s_add_i32 s77, s80, -1
	s_cmp_le_i32 s77, s76
	v_mov_b32_e32 v41, 0
	s_waitcnt lgkmcnt(0)
	s_barrier
	s_cbranch_scc1 .LBB0_72
; %bb.67:                               ;   in Loop: Header=BB0_15 Depth=1
	v_add_u32_e32 v1, s81, v57
	v_lshl_add_u32 v1, v1, 1, v101
	v_readlane_b32 s10, v255, 4
	v_mul_hi_u32 v28, s10, v1
	v_readlane_b32 s11, v255, 5
	v_add_u32_e32 v28, v1, v28
	v_lshrrev_b32_e32 v28, s11, v28
	v_mul_lo_u32 v28, v28, s36
	v_readlane_b32 s10, v255, 21
	v_sub_u32_e32 v1, v1, v28
	v_readlane_b32 s11, v255, 22
	v_mad_i64_i32 v[52:53], s[10:11], v1, s10, 0
	v_lshlrev_b64 v[52:53], 1, v[52:53]
	v_add_co_u32_e32 v1, vcc, v103, v52
	v_addc_co_u32_e32 v28, vcc, v105, v53, vcc
	v_lshlrev_b32_e32 v31, 1, v34
	v_add_co_u32_e32 v31, vcc, v1, v31
	v_and_b32_e32 v1, 64, v252
	v_addc_co_u32_e32 v33, vcc, 0, v28, vcc
	v_add_u32_e32 v1, 64, v1
	v_xor_b32_e32 v28, 32, v252
	v_cmp_lt_i32_e32 vcc, v28, v1
	v_cndmask_b32_e32 v28, v252, v28, vcc
	v_lshlrev_b32_e32 v35, 2, v28
	v_xor_b32_e32 v28, 16, v252
	v_cmp_lt_i32_e32 vcc, v28, v1
	v_cndmask_b32_e32 v1, v252, v28, vcc
	v_mov_b32_e32 v45, 0
	v_lshlrev_b32_e32 v37, 2, v1
	s_lshl_b32 s10, s76, 6
	v_mov_b32_e32 v47, 0
	v_mov_b32_e32 v58, 0xfeffffff
	;; [unrolled: 1-line block ×17, first 2 shown]
	s_ashr_i32 s11, s10, 31
	s_and_saveexec_b64 s[14:15], s[0:1]
	s_cbranch_execz .LBB0_69
.LBB0_68:                               ;   in Loop: Header=BB0_15 Depth=1
	s_lshl_b64 s[78:79], s[10:11], 1
	v_mov_b32_e32 v1, s79
	v_add_co_u32_e32 v52, vcc, s78, v31
	v_addc_co_u32_e32 v53, vcc, v33, v1, vcc
	global_load_dword v1, v[52:53], off
	s_waitcnt vmcnt(0)
	ds_write_b32 v127, v1 offset:17408
.LBB0_69:                               ;   Parent Loop BB0_15 Depth=1
                                        ; =>  This Inner Loop Header: Depth=2
	s_or_b64 exec, exec, s[14:15]
	s_mul_hi_i32 s15, s10, s38
	s_mul_i32 s14, s10, s38
	s_lshl_b64 s[14:15], s[14:15], 2
	s_add_u32 s14, s82, s14
	s_addc_u32 s11, s83, s15
	v_add_co_u32_e32 v1, vcc, s14, v90
	v_mov_b32_e32 v28, s11
	v_addc_co_u32_e32 v28, vcc, v28, v91, vcc
	v_lshlrev_b32_e32 v54, 2, v36
	v_add_co_u32_e32 v52, vcc, v1, v54
	v_addc_co_u32_e32 v53, vcc, 0, v28, vcc
	global_load_dwordx4 v[138:141], v[52:53], off offset:256
	v_add_co_u32_e32 v1, vcc, s14, v88
	v_mov_b32_e32 v28, s11
	v_addc_co_u32_e32 v28, vcc, v28, v89, vcc
	v_add_co_u32_e32 v52, vcc, v1, v54
	v_addc_co_u32_e32 v53, vcc, 0, v28, vcc
	v_add_u32_e32 v1, 0x2000, v133
	v_add_co_u32_e32 v28, vcc, s14, v92
	v_lshlrev_b32_e32 v54, 2, v100
	s_mul_hi_i32 s15, s10, s34
	s_waitcnt vmcnt(0)
	ds_write_b128 v129, v[138:141]
	global_load_dwordx4 v[138:141], v[52:53], off offset:256
	v_mov_b32_e32 v52, s11
	v_addc_co_u32_e32 v53, vcc, v52, v93, vcc
	v_add_co_u32_e32 v52, vcc, v28, v54
	v_addc_co_u32_e32 v53, vcc, 0, v53, vcc
	v_add_co_u32_e32 v28, vcc, s14, v94
	s_waitcnt vmcnt(0)
	ds_write_b128 v131, v[138:141]
	s_waitcnt lgkmcnt(0)
	s_barrier
	ds_read2_b64 v[138:141], v133 offset1:4
	s_waitcnt lgkmcnt(0)
	v_mfma_f32_16x16x16f16 a[0:3], v[138:139], v[22:23], 0
	v_mfma_f32_16x16x16f16 a[0:3], v[140:141], v[24:25], a[0:3]
	ds_read2_b64 v[138:141], v133 offset0:8 offset1:12
	s_waitcnt lgkmcnt(0)
	v_mfma_f32_16x16x16f16 a[0:3], v[138:139], v[18:19], a[0:3]
	v_mfma_f32_16x16x16f16 a[4:7], v[140:141], v[20:21], a[0:3]
	ds_read2_b64 v[138:141], v1 offset0:64 offset1:68
	;; [unrolled: 4-line block ×3, first 2 shown]
	s_waitcnt lgkmcnt(0)
	s_barrier
	v_mfma_f32_16x16x16f16 a[0:3], v[138:139], v[18:19], a[0:3]
	v_mfma_f32_16x16x16f16 a[0:3], v[140:141], v[20:21], a[0:3]
	global_load_dwordx4 v[138:141], v[52:53], off
	v_mov_b32_e32 v52, s11
	v_addc_co_u32_e32 v53, vcc, v52, v95, vcc
	v_add_co_u32_e32 v52, vcc, v28, v54
	v_addc_co_u32_e32 v53, vcc, 0, v53, vcc
	v_add_co_u32_e32 v28, vcc, s14, v96
	s_waitcnt vmcnt(0)
	ds_write_b128 v190, v[138:141]
	global_load_dwordx4 v[138:141], v[52:53], off
	v_mov_b32_e32 v52, s11
	v_addc_co_u32_e32 v53, vcc, v52, v97, vcc
	v_add_co_u32_e32 v52, vcc, v28, v54
	v_addc_co_u32_e32 v53, vcc, 0, v53, vcc
	v_add_co_u32_e32 v28, vcc, s14, v98
	s_mul_i32 s14, s10, s34
	s_lshl_b64 s[14:15], s[14:15], 2
	s_add_u32 s14, s8, s14
	s_waitcnt vmcnt(0)
	ds_write_b128 v192, v[138:141]
	global_load_dwordx4 v[138:141], v[52:53], off
	v_mov_b32_e32 v52, s11
	v_addc_co_u32_e32 v53, vcc, v52, v99, vcc
	v_add_co_u32_e32 v52, vcc, v28, v54
	v_addc_co_u32_e32 v53, vcc, 0, v53, vcc
	s_addc_u32 s11, s9, s15
	s_add_i32 s76, s76, 1
	s_add_i32 s10, s10, 64
	s_cmp_lt_i32 s76, s77
	s_waitcnt vmcnt(0)
	ds_write_b128 v194, v[138:141]
	global_load_dwordx4 v[138:141], v[52:53], off
	s_waitcnt vmcnt(0)
	ds_write_b128 v197, v[138:141]
	s_waitcnt lgkmcnt(0)
	s_barrier
	ds_read2_b64 v[138:141], v133 offset1:4
	s_waitcnt lgkmcnt(0)
	v_mfma_f32_16x16x16f16 a[4:7], v[138:139], v[14:15], a[4:7]
	v_mfma_f32_16x16x16f16 a[4:7], v[140:141], v[16:17], a[4:7]
	ds_read2_b64 v[138:141], v133 offset0:8 offset1:12
	s_waitcnt lgkmcnt(0)
	v_mfma_f32_16x16x16f16 a[4:7], v[138:139], v[10:11], a[4:7]
	v_mfma_f32_16x16x16f16 a[4:7], v[140:141], v[12:13], a[4:7]
	ds_read2_b64 v[138:141], v133 offset0:16 offset1:20
	;; [unrolled: 4-line block ×4, first 2 shown]
	s_waitcnt lgkmcnt(0)
	v_mfma_f32_16x16x16f16 a[0:3], v[138:139], v[14:15], a[0:3]
	s_nop 7
	v_accvgpr_read_b32 v213, a5
	v_accvgpr_read_b32 v212, a4
	;; [unrolled: 1-line block ×4, first 2 shown]
	v_mfma_f32_16x16x16f16 a[0:3], v[140:141], v[16:17], a[0:3]
	ds_read2_b64 v[138:141], v1 offset0:72 offset1:76
	s_waitcnt lgkmcnt(0)
	v_mfma_f32_16x16x16f16 a[0:3], v[138:139], v[10:11], a[0:3]
	v_mfma_f32_16x16x16f16 a[0:3], v[140:141], v[12:13], a[0:3]
	ds_read2_b64 v[138:141], v1 offset0:80 offset1:84
	s_waitcnt lgkmcnt(0)
	v_mfma_f32_16x16x16f16 a[0:3], v[138:139], v[6:7], a[0:3]
	v_mfma_f32_16x16x16f16 a[0:3], v[140:141], v[8:9], a[0:3]
	ds_read2_b64 v[138:141], v1 offset0:88 offset1:92
	v_add_u32_e32 v1, 0x4400, v135
	s_waitcnt lgkmcnt(0)
	s_barrier
	v_mfma_f32_16x16x16f16 a[0:3], v[138:139], v[2:3], a[0:3]
	ds_read2_b32 v[138:139], v1 offset1:1
	ds_read_b32 v1, v198 offset:17408
	ds_read_b32 v28, v199 offset:17408
	v_mfma_f32_16x16x16f16 a[0:3], v[140:141], v[4:5], a[0:3]
	s_waitcnt lgkmcnt(2)
	v_cvt_f32_f16_e32 v140, v138
	v_cvt_f32_f16_sdwa v141, v138 dst_sel:DWORD dst_unused:UNUSED_PAD src0_sel:WORD_1
	v_cvt_f32_f16_e32 v138, v139
	v_cvt_f32_f16_sdwa v139, v139 dst_sel:DWORD dst_unused:UNUSED_PAD src0_sel:WORD_1
	v_pk_add_f32 v[140:141], v[212:213], v[140:141]
	s_waitcnt lgkmcnt(0)
	v_cvt_f32_f16_sdwa v213, v28 dst_sel:DWORD dst_unused:UNUSED_PAD src0_sel:WORD_1
	v_cvt_f32_f16_e32 v212, v28
	v_add_f32_e32 v54, 0x40051340, v140
	v_add_f32_e32 v117, 0x40051340, v141
	v_pk_add_f32 v[52:53], v[52:53], v[138:139]
	v_accvgpr_read_b32 v119, a3
	v_accvgpr_read_b32 v118, a2
	v_pk_add_f32 v[118:119], v[118:119], v[212:213]
	v_cvt_f32_f16_sdwa v213, v1 dst_sel:DWORD dst_unused:UNUSED_PAD src0_sel:WORD_1
	v_cvt_f32_f16_e32 v212, v1
	v_accvgpr_read_b32 v215, a1
	v_accvgpr_read_b32 v214, a0
	v_max3_f32 v54, v58, v54, v117
	v_pk_add_f32 v[212:213], v[214:215], v[212:213]
	v_add_f32_e32 v126, 0x40051340, v52
	v_add_f32_e32 v128, 0x40051340, v53
	;; [unrolled: 1-line block ×4, first 2 shown]
	v_max3_f32 v54, v54, v126, v128
	v_add_f32_e32 v28, 0x40051340, v118
	v_add_f32_e32 v117, 0x40051340, v119
	v_max3_f32 v1, v54, v1, v124
	v_max3_f32 v1, v1, v28, v117
	ds_bpermute_b32 v28, v35, v1
	s_waitcnt lgkmcnt(0)
	v_max_f32_e32 v28, v28, v28
	v_max_f32_e32 v1, v1, v28
	ds_bpermute_b32 v28, v37, v1
	s_waitcnt lgkmcnt(0)
	v_max_f32_e32 v28, v28, v28
	v_max_f32_e32 v28, v1, v28
	v_pk_add_f32 v[138:139], v[140:141], v[28:29] op_sel_hi:[1,0] neg_lo:[0,1] neg_hi:[0,1]
	v_mul_f32_e32 v1, 0x3fb8aa3b, v139
	v_fma_f32 v54, v139, s47, -v1
	v_rndne_f32_e32 v117, v1
	v_fmac_f32_e32 v54, 0x32a5705f, v139
	v_sub_f32_e32 v1, v1, v117
	v_add_f32_e32 v1, v1, v54
	v_exp_f32_e32 v1, v1
	v_cvt_i32_f32_e32 v54, v117
	v_cmp_ngt_f32_e32 vcc, s69, v139
	v_pk_add_f32 v[52:53], v[52:53], v[28:29] op_sel_hi:[1,0] neg_lo:[0,1] neg_hi:[0,1]
	v_sub_f32_e32 v58, v58, v28
	v_ldexp_f32 v1, v1, v54
	v_cndmask_b32_e32 v1, 0, v1, vcc
	v_cmp_nlt_f32_e32 vcc, s68, v139
	v_cndmask_b32_e32 v54, v221, v1, vcc
	v_mul_f32_e32 v1, 0x3fb8aa3b, v138
	v_fma_f32 v117, v138, s47, -v1
	v_rndne_f32_e32 v124, v1
	v_fmac_f32_e32 v117, 0x32a5705f, v138
	v_sub_f32_e32 v1, v1, v124
	v_add_f32_e32 v1, v1, v117
	v_exp_f32_e32 v1, v1
	v_cvt_i32_f32_e32 v117, v124
	v_cmp_ngt_f32_e32 vcc, s69, v138
	v_ldexp_f32 v1, v1, v117
	v_cndmask_b32_e32 v1, 0, v1, vcc
	v_cmp_nlt_f32_e32 vcc, s68, v138
	v_cndmask_b32_e32 v117, v221, v1, vcc
	v_mul_f32_e32 v1, 0x3fb8aa3b, v53
	v_fma_f32 v124, v53, s47, -v1
	v_rndne_f32_e32 v126, v1
	v_fmac_f32_e32 v124, 0x32a5705f, v53
	v_sub_f32_e32 v1, v1, v126
	v_add_f32_e32 v1, v1, v124
	v_exp_f32_e32 v1, v1
	v_cvt_i32_f32_e32 v124, v126
	v_cmp_ngt_f32_e32 vcc, s69, v53
	;; [unrolled: 13-line block ×3, first 2 shown]
	v_ldexp_f32 v1, v1, v53
	v_cndmask_b32_e32 v1, 0, v1, vcc
	v_cmp_nlt_f32_e32 vcc, s68, v52
	v_pk_add_f32 v[52:53], v[212:213], v[28:29] op_sel_hi:[1,0] neg_lo:[0,1] neg_hi:[0,1]
	v_cndmask_b32_e32 v138, v221, v1, vcc
	v_mul_f32_e32 v1, 0x3fb8aa3b, v53
	v_fma_f32 v124, v53, s47, -v1
	v_rndne_f32_e32 v126, v1
	v_fmac_f32_e32 v124, 0x32a5705f, v53
	v_sub_f32_e32 v1, v1, v126
	v_add_f32_e32 v1, v1, v124
	v_exp_f32_e32 v1, v1
	v_cvt_i32_f32_e32 v124, v126
	v_cmp_ngt_f32_e32 vcc, s69, v53
	v_ldexp_f32 v1, v1, v124
	v_cndmask_b32_e32 v1, 0, v1, vcc
	v_cmp_nlt_f32_e32 vcc, s68, v53
	v_cndmask_b32_e32 v139, v221, v1, vcc
	v_mul_f32_e32 v1, 0x3fb8aa3b, v52
	v_fma_f32 v53, v52, s47, -v1
	v_rndne_f32_e32 v124, v1
	v_fmac_f32_e32 v53, 0x32a5705f, v52
	v_sub_f32_e32 v1, v1, v124
	v_add_f32_e32 v1, v1, v53
	v_exp_f32_e32 v1, v1
	v_cvt_i32_f32_e32 v53, v124
	v_cmp_ngt_f32_e32 vcc, s69, v52
	v_ldexp_f32 v1, v1, v53
	v_cndmask_b32_e32 v1, 0, v1, vcc
	v_cmp_nlt_f32_e32 vcc, s68, v52
	v_pk_add_f32 v[52:53], v[118:119], v[28:29] op_sel_hi:[1,0] neg_lo:[0,1] neg_hi:[0,1]
	v_cndmask_b32_e32 v140, v221, v1, vcc
	v_mul_f32_e32 v1, 0x3fb8aa3b, v53
	v_fma_f32 v118, v53, s47, -v1
	v_rndne_f32_e32 v119, v1
	v_fmac_f32_e32 v118, 0x32a5705f, v53
	v_sub_f32_e32 v1, v1, v119
	v_add_f32_e32 v1, v1, v118
	v_exp_f32_e32 v1, v1
	v_cvt_i32_f32_e32 v118, v119
	v_cmp_ngt_f32_e32 vcc, s69, v53
	v_ldexp_f32 v1, v1, v118
	v_cndmask_b32_e32 v1, 0, v1, vcc
	v_cmp_nlt_f32_e32 vcc, s68, v53
	v_cndmask_b32_e32 v53, v221, v1, vcc
	v_mul_f32_e32 v1, 0x3fb8aa3b, v52
	v_fma_f32 v118, v52, s47, -v1
	v_rndne_f32_e32 v119, v1
	v_fmac_f32_e32 v118, 0x32a5705f, v52
	v_sub_f32_e32 v1, v1, v119
	v_add_f32_e32 v1, v1, v118
	v_exp_f32_e32 v1, v1
	v_cvt_i32_f32_e32 v118, v119
	v_cmp_ngt_f32_e32 vcc, s69, v52
	v_ldexp_f32 v1, v1, v118
	v_mul_f32_e32 v118, 0x3fb8aa3b, v58
	v_fma_f32 v119, v58, s47, -v118
	v_rndne_f32_e32 v124, v118
	v_fmac_f32_e32 v119, 0x32a5705f, v58
	v_sub_f32_e32 v118, v118, v124
	v_add_f32_e32 v118, v118, v119
	v_cndmask_b32_e32 v1, 0, v1, vcc
	v_cmp_nlt_f32_e32 vcc, s68, v52
	v_exp_f32_e32 v118, v118
	v_cvt_i32_f32_e32 v119, v124
	v_cndmask_b32_e32 v52, v221, v1, vcc
	v_add_f32_e32 v1, v117, v54
	v_add_f32_e32 v1, v138, v1
	;; [unrolled: 1-line block ×4, first 2 shown]
	v_ldexp_f32 v118, v118, v119
	v_cmp_ngt_f32_e32 vcc, s69, v58
	v_add_f32_e32 v1, v139, v1
	v_cndmask_b32_e32 v118, 0, v118, vcc
	v_cmp_nlt_f32_e32 vcc, s68, v58
	v_add_f32_e32 v1, v52, v1
	v_cndmask_b32_e32 v118, v221, v118, vcc
	v_cmp_le_f32_e32 vcc, s7, v58
	v_add_f32_e32 v1, v53, v1
	v_cndmask_b32_e32 v58, 0, v118, vcc
	v_fmac_f32_e32 v1, v47, v58
	v_cvt_f16_f32_e32 v58, v58
	v_cvt_f16_f32_e32 v54, v54
	;; [unrolled: 1-line block ×4, first 2 shown]
	v_pk_mul_f16 v43, v58, v43 op_sel_hi:[0,1]
	v_pk_mul_f16 v41, v58, v41 op_sel_hi:[0,1]
	;; [unrolled: 1-line block ×16, first 2 shown]
	v_cvt_f16_f32_e32 v58, v117
	v_pack_b32_f16 v117, v52, v53
	v_add_co_u32_e32 v52, vcc, s14, v80
	v_pack_b32_f16 v118, v58, v54
	v_cvt_f16_f32_e32 v54, v136
	v_cvt_f16_f32_e32 v58, v138
	v_mov_b32_e32 v53, s11
	v_addc_co_u32_e32 v53, vcc, v53, v81, vcc
	v_pack_b32_f16 v119, v58, v54
	v_cvt_f16_f32_e32 v54, v139
	v_cvt_f16_f32_e32 v58, v140
	v_mov_b32_e32 v60, s11
	v_pack_b32_f16 v116, v58, v54
	v_lshlrev_b32_e32 v54, 2, v42
	v_add_co_u32_e32 v120, vcc, v52, v54
	v_addc_co_u32_e32 v121, vcc, 0, v53, vcc
	v_add_co_u32_e32 v52, vcc, s14, v82
	v_mov_b32_e32 v53, s11
	v_addc_co_u32_e32 v53, vcc, v53, v83, vcc
	v_add_co_u32_e32 v122, vcc, v52, v54
	v_addc_co_u32_e32 v123, vcc, 0, v53, vcc
	global_load_dwordx4 v[138:141], v[120:121], off
	v_add_co_u32_e32 v52, vcc, s14, v84
	global_load_dwordx4 v[120:123], v[122:123], off
	v_mov_b32_e32 v53, s11
	v_addc_co_u32_e32 v53, vcc, v53, v85, vcc
	v_add_co_u32_e32 v52, vcc, v52, v54
	v_addc_co_u32_e32 v53, vcc, 0, v53, vcc
	v_add_co_u32_e32 v58, vcc, s14, v86
	;; [unrolled: 2-line block ×3, first 2 shown]
	v_addc_co_u32_e32 v213, vcc, 0, v60, vcc
	s_waitcnt vmcnt(1)
	ds_write_b128 v191, v[138:141]
	v_cvt_f32_f16_sdwa v139, v132 dst_sel:DWORD dst_unused:UNUSED_PAD src0_sel:WORD_1
	v_cvt_f32_f16_e32 v140, v130
	s_waitcnt vmcnt(0)
	ds_write_b128 v193, v[120:123]
	global_load_dwordx4 v[120:123], v[52:53], off
	v_cvt_f32_f16_sdwa v141, v130 dst_sel:DWORD dst_unused:UNUSED_PAD src0_sel:WORD_1
	s_waitcnt vmcnt(0)
	ds_write_b128 v195, v[120:123]
	global_load_dwordx4 v[120:123], v[212:213], off
	s_waitcnt vmcnt(0)
	ds_write_b128 v196, v[120:123]
	s_waitcnt lgkmcnt(0)
	s_barrier
	ds_read_u16 v52, v183 offset:272
	ds_read_u16 v53, v184 offset:272
	v_cvt_f32_f16_e32 v122, v41
	v_cvt_f32_f16_sdwa v123, v41 dst_sel:DWORD dst_unused:UNUSED_PAD src0_sel:WORD_1
	ds_read_u16 v41, v142
	ds_read_u16 v54, v142 offset:32
	v_cvt_f32_f16_e32 v120, v43
	v_cvt_f32_f16_sdwa v121, v43 dst_sel:DWORD dst_unused:UNUSED_PAD src0_sel:WORD_1
	s_waitcnt lgkmcnt(1)
	v_perm_b32 v53, v53, v41, s6
	ds_read_u16 v41, v137
	ds_read_u16 v58, v137 offset:32
	v_accvgpr_write_b32 a0, v120
	v_accvgpr_write_b32 a1, v121
	v_accvgpr_write_b32 a2, v122
	s_waitcnt lgkmcnt(1)
	v_perm_b32 v52, v52, v41, s6
	v_accvgpr_write_b32 a3, v123
	ds_read_u16 v60, v137 offset:8704
	ds_read_u16 v62, v157 offset:272
	ds_read_u16 v136, v142 offset:8704
	ds_read_u16 v138, v158 offset:272
	v_mfma_f32_16x16x16f16 a[0:3], v[52:53], v[118:119], a[0:3]
	s_nop 7
	s_nop 2
	v_accvgpr_read_b32 v41, a0
	v_cvt_f16_f32_e32 v41, v41
	v_accvgpr_read_b32 v43, a1
	v_accvgpr_read_b32 v52, a2
	;; [unrolled: 1-line block ×3, first 2 shown]
	v_cvt_f16_f32_e32 v43, v43
	v_cvt_f16_f32_e32 v52, v52
	;; [unrolled: 1-line block ×3, first 2 shown]
	v_cvt_f32_f16_e32 v120, v41
	v_cvt_f32_f16_e32 v121, v43
	;; [unrolled: 1-line block ×4, first 2 shown]
	s_waitcnt lgkmcnt(0)
	v_perm_b32 v53, v138, v136, s6
	v_perm_b32 v52, v62, v60, s6
	v_accvgpr_write_b32 a0, v120
	v_accvgpr_write_b32 a1, v121
	v_accvgpr_write_b32 a2, v122
	v_accvgpr_write_b32 a3, v123
	v_cvt_f32_f16_e32 v120, v109
	v_cvt_f32_f16_sdwa v121, v109 dst_sel:DWORD dst_unused:UNUSED_PAD src0_sel:WORD_1
	v_mfma_f32_16x16x16f16 a[0:3], v[52:53], v[116:117], a[0:3]
	v_cvt_f32_f16_e32 v122, v107
	v_cvt_f32_f16_sdwa v123, v107 dst_sel:DWORD dst_unused:UNUSED_PAD src0_sel:WORD_1
	v_cvt_f32_f16_e32 v138, v132
	s_nop 7
	v_accvgpr_read_b32 v41, a0
	v_accvgpr_read_b32 v43, a1
	;; [unrolled: 1-line block ×4, first 2 shown]
	v_cvt_f16_f32_e32 v41, v41
	v_cvt_f16_f32_e32 v43, v43
	;; [unrolled: 1-line block ×4, first 2 shown]
	v_accvgpr_write_b32 a0, v120
	v_pack_b32_f16 v43, v41, v43
	v_accvgpr_write_b32 a1, v121
	v_pack_b32_f16 v41, v52, v53
	ds_read_u16 v52, v159 offset:272
	ds_read_u16 v53, v160 offset:272
	v_accvgpr_write_b32 a2, v122
	v_accvgpr_write_b32 a3, v123
	ds_read_u16 v60, v143 offset:8704
	ds_read_u16 v62, v161 offset:272
	;; [unrolled: 1-line block ×4, first 2 shown]
	s_waitcnt lgkmcnt(5)
	v_perm_b32 v52, v52, v58, s6
	s_waitcnt lgkmcnt(4)
	v_perm_b32 v53, v53, v54, s6
	s_nop 1
	v_mfma_f32_16x16x16f16 a[0:3], v[52:53], v[118:119], a[0:3]
	s_nop 7
	s_nop 2
	v_accvgpr_read_b32 v52, a0
	v_cvt_f16_f32_e32 v52, v52
	v_accvgpr_read_b32 v53, a1
	v_accvgpr_read_b32 v54, a2
	;; [unrolled: 1-line block ×3, first 2 shown]
	v_cvt_f16_f32_e32 v53, v53
	v_cvt_f16_f32_e32 v54, v54
	;; [unrolled: 1-line block ×3, first 2 shown]
	v_cvt_f32_f16_e32 v120, v52
	v_cvt_f32_f16_e32 v121, v53
	;; [unrolled: 1-line block ×4, first 2 shown]
	s_waitcnt lgkmcnt(0)
	v_perm_b32 v53, v109, v107, s6
	v_perm_b32 v52, v62, v60, s6
	v_accvgpr_write_b32 a0, v120
	v_accvgpr_write_b32 a1, v121
	;; [unrolled: 1-line block ×4, first 2 shown]
	v_cvt_f32_f16_e32 v120, v113
	v_cvt_f32_f16_sdwa v121, v113 dst_sel:DWORD dst_unused:UNUSED_PAD src0_sel:WORD_1
	v_mfma_f32_16x16x16f16 a[0:3], v[52:53], v[116:117], a[0:3]
	v_cvt_f32_f16_e32 v122, v111
	v_cvt_f32_f16_sdwa v123, v111 dst_sel:DWORD dst_unused:UNUSED_PAD src0_sel:WORD_1
	s_nop 7
	s_nop 0
	v_accvgpr_read_b32 v52, a0
	v_accvgpr_read_b32 v53, a1
	;; [unrolled: 1-line block ×4, first 2 shown]
	v_cvt_f16_f32_e32 v52, v52
	v_cvt_f16_f32_e32 v53, v53
	;; [unrolled: 1-line block ×4, first 2 shown]
	v_accvgpr_write_b32 a0, v120
	v_pack_b32_f16 v109, v52, v53
	v_accvgpr_write_b32 a1, v121
	v_pack_b32_f16 v107, v54, v58
	ds_read_u16 v52, v137 offset:64
	ds_read_u16 v54, v163 offset:272
	;; [unrolled: 1-line block ×4, first 2 shown]
	v_accvgpr_write_b32 a2, v122
	v_accvgpr_write_b32 a3, v123
	s_waitcnt lgkmcnt(2)
	v_perm_b32 v52, v54, v52, s6
	ds_read_u16 v60, v145 offset:8704
	ds_read_u16 v62, v165 offset:272
	;; [unrolled: 1-line block ×4, first 2 shown]
	s_waitcnt lgkmcnt(4)
	v_perm_b32 v53, v58, v53, s6
	s_nop 1
	v_mfma_f32_16x16x16f16 a[0:3], v[52:53], v[118:119], a[0:3]
	s_nop 7
	s_nop 2
	v_accvgpr_read_b32 v52, a0
	v_cvt_f16_f32_e32 v52, v52
	v_accvgpr_read_b32 v53, a1
	v_accvgpr_read_b32 v54, a2
	;; [unrolled: 1-line block ×3, first 2 shown]
	v_cvt_f16_f32_e32 v53, v53
	v_cvt_f16_f32_e32 v54, v54
	v_cvt_f16_f32_e32 v58, v58
	v_cvt_f32_f16_e32 v120, v52
	v_cvt_f32_f16_e32 v121, v53
	;; [unrolled: 1-line block ×4, first 2 shown]
	s_waitcnt lgkmcnt(0)
	v_perm_b32 v53, v113, v111, s6
	v_perm_b32 v52, v62, v60, s6
	v_accvgpr_write_b32 a0, v120
	v_accvgpr_write_b32 a1, v121
	v_accvgpr_write_b32 a2, v122
	v_accvgpr_write_b32 a3, v123
	v_cvt_f32_f16_e32 v120, v134
	v_cvt_f32_f16_sdwa v121, v134 dst_sel:DWORD dst_unused:UNUSED_PAD src0_sel:WORD_1
	v_mfma_f32_16x16x16f16 a[0:3], v[52:53], v[116:117], a[0:3]
	v_cvt_f32_f16_e32 v122, v115
	v_cvt_f32_f16_sdwa v123, v115 dst_sel:DWORD dst_unused:UNUSED_PAD src0_sel:WORD_1
	s_nop 7
	s_nop 0
	v_accvgpr_read_b32 v52, a0
	v_accvgpr_read_b32 v53, a1
	;; [unrolled: 1-line block ×4, first 2 shown]
	v_cvt_f16_f32_e32 v52, v52
	v_cvt_f16_f32_e32 v53, v53
	;; [unrolled: 1-line block ×4, first 2 shown]
	v_accvgpr_write_b32 a0, v120
	v_pack_b32_f16 v113, v52, v53
	v_accvgpr_write_b32 a1, v121
	v_pack_b32_f16 v111, v54, v58
	ds_read_u16 v52, v137 offset:96
	ds_read_u16 v54, v167 offset:272
	;; [unrolled: 1-line block ×4, first 2 shown]
	v_accvgpr_write_b32 a2, v122
	v_accvgpr_write_b32 a3, v123
	s_waitcnt lgkmcnt(2)
	v_perm_b32 v52, v54, v52, s6
	ds_read_u16 v60, v147 offset:8704
	ds_read_u16 v62, v169 offset:272
	;; [unrolled: 1-line block ×4, first 2 shown]
	s_waitcnt lgkmcnt(4)
	v_perm_b32 v53, v58, v53, s6
	s_nop 1
	v_mfma_f32_16x16x16f16 a[0:3], v[52:53], v[118:119], a[0:3]
	s_nop 7
	s_nop 2
	v_accvgpr_read_b32 v52, a0
	v_cvt_f16_f32_e32 v52, v52
	v_accvgpr_read_b32 v53, a1
	v_accvgpr_read_b32 v54, a2
	;; [unrolled: 1-line block ×3, first 2 shown]
	v_cvt_f16_f32_e32 v53, v53
	v_cvt_f16_f32_e32 v54, v54
	;; [unrolled: 1-line block ×3, first 2 shown]
	v_cvt_f32_f16_e32 v120, v52
	v_cvt_f32_f16_e32 v121, v53
	;; [unrolled: 1-line block ×4, first 2 shown]
	s_waitcnt lgkmcnt(0)
	v_perm_b32 v53, v134, v115, s6
	v_perm_b32 v52, v62, v60, s6
	v_accvgpr_write_b32 a0, v120
	v_accvgpr_write_b32 a1, v121
	;; [unrolled: 1-line block ×4, first 2 shown]
	s_nop 1
	v_mfma_f32_16x16x16f16 a[0:3], v[52:53], v[116:117], a[0:3]
	s_nop 7
	s_nop 2
	v_accvgpr_read_b32 v52, a0
	v_accvgpr_read_b32 v53, a1
	v_accvgpr_read_b32 v54, a2
	v_accvgpr_read_b32 v58, a3
	v_cvt_f16_f32_e32 v52, v52
	v_cvt_f16_f32_e32 v53, v53
	v_cvt_f16_f32_e32 v54, v54
	v_cvt_f16_f32_e32 v58, v58
	v_accvgpr_write_b32 a0, v138
	v_pack_b32_f16 v120, v52, v53
	v_accvgpr_write_b32 a1, v139
	v_pack_b32_f16 v115, v54, v58
	ds_read_u16 v52, v137 offset:128
	ds_read_u16 v54, v171 offset:272
	ds_read_u16 v53, v142 offset:128
	ds_read_u16 v58, v172 offset:272
	v_accvgpr_write_b32 a2, v140
	v_accvgpr_write_b32 a3, v141
	s_waitcnt lgkmcnt(2)
	v_perm_b32 v52, v54, v52, s6
	ds_read_u16 v60, v149 offset:8704
	ds_read_u16 v62, v173 offset:272
	ds_read_u16 v121, v150 offset:8704
	ds_read_u16 v122, v174 offset:272
	s_waitcnt lgkmcnt(4)
	v_perm_b32 v53, v58, v53, s6
	s_nop 1
	v_mfma_f32_16x16x16f16 a[0:3], v[52:53], v[118:119], a[0:3]
	s_nop 7
	s_nop 2
	v_accvgpr_read_b32 v52, a0
	v_cvt_f16_f32_e32 v52, v52
	v_accvgpr_read_b32 v53, a1
	v_accvgpr_read_b32 v54, a2
	v_accvgpr_read_b32 v58, a3
	v_cvt_f16_f32_e32 v53, v53
	v_cvt_f16_f32_e32 v54, v54
	v_cvt_f16_f32_e32 v58, v58
	v_cvt_f32_f16_e32 v138, v52
	v_cvt_f32_f16_e32 v139, v53
	v_cvt_f32_f16_e32 v140, v54
	v_cvt_f32_f16_e32 v141, v58
	s_waitcnt lgkmcnt(0)
	v_perm_b32 v53, v122, v121, s6
	v_perm_b32 v52, v62, v60, s6
	v_accvgpr_write_b32 a0, v138
	v_accvgpr_write_b32 a1, v139
	v_accvgpr_write_b32 a2, v140
	v_accvgpr_write_b32 a3, v141
	v_cvt_f32_f16_e32 v138, v128
	v_cvt_f32_f16_sdwa v139, v128 dst_sel:DWORD dst_unused:UNUSED_PAD src0_sel:WORD_1
	v_mfma_f32_16x16x16f16 a[0:3], v[52:53], v[116:117], a[0:3]
	v_cvt_f32_f16_e32 v140, v64
	v_cvt_f32_f16_sdwa v141, v64 dst_sel:DWORD dst_unused:UNUSED_PAD src0_sel:WORD_1
	s_nop 7
	s_nop 0
	v_accvgpr_read_b32 v52, a0
	v_accvgpr_read_b32 v53, a1
	v_accvgpr_read_b32 v54, a2
	v_accvgpr_read_b32 v58, a3
	v_cvt_f16_f32_e32 v52, v52
	v_cvt_f16_f32_e32 v53, v53
	v_cvt_f16_f32_e32 v54, v54
	v_cvt_f16_f32_e32 v58, v58
	v_accvgpr_write_b32 a0, v138
	v_pack_b32_f16 v122, v52, v53
	v_accvgpr_write_b32 a1, v139
	v_pack_b32_f16 v121, v54, v58
	ds_read_u16 v52, v137 offset:160
	ds_read_u16 v54, v175 offset:272
	ds_read_u16 v53, v142 offset:160
	ds_read_u16 v58, v176 offset:272
	v_accvgpr_write_b32 a2, v140
	v_accvgpr_write_b32 a3, v141
	s_waitcnt lgkmcnt(2)
	v_perm_b32 v52, v54, v52, s6
	ds_read_u16 v60, v151 offset:8704
	ds_read_u16 v62, v177 offset:272
	ds_read_u16 v64, v152 offset:8704
	ds_read_u16 v123, v178 offset:272
	s_waitcnt lgkmcnt(4)
	v_perm_b32 v53, v58, v53, s6
	s_nop 1
	v_mfma_f32_16x16x16f16 a[0:3], v[52:53], v[118:119], a[0:3]
	s_nop 7
	s_nop 2
	v_accvgpr_read_b32 v52, a0
	v_cvt_f16_f32_e32 v52, v52
	v_accvgpr_read_b32 v53, a1
	v_accvgpr_read_b32 v54, a2
	v_accvgpr_read_b32 v58, a3
	v_cvt_f16_f32_e32 v53, v53
	v_cvt_f16_f32_e32 v54, v54
	v_cvt_f16_f32_e32 v58, v58
	v_cvt_f32_f16_e32 v138, v52
	v_cvt_f32_f16_e32 v139, v53
	v_cvt_f32_f16_e32 v140, v54
	v_cvt_f32_f16_e32 v141, v58
	s_waitcnt lgkmcnt(0)
	v_perm_b32 v53, v123, v64, s6
	v_perm_b32 v52, v62, v60, s6
	v_accvgpr_write_b32 a0, v138
	v_accvgpr_write_b32 a1, v139
	v_accvgpr_write_b32 a2, v140
	v_accvgpr_write_b32 a3, v141
	v_cvt_f32_f16_e32 v138, v126
	v_cvt_f32_f16_sdwa v139, v126 dst_sel:DWORD dst_unused:UNUSED_PAD src0_sel:WORD_1
	v_mfma_f32_16x16x16f16 a[0:3], v[52:53], v[116:117], a[0:3]
	v_cvt_f32_f16_e32 v140, v124
	v_cvt_f32_f16_sdwa v141, v124 dst_sel:DWORD dst_unused:UNUSED_PAD src0_sel:WORD_1
	;; [unrolled: 56-line block ×3, first 2 shown]
	s_nop 7
	s_nop 0
	v_accvgpr_read_b32 v52, a0
	v_accvgpr_read_b32 v53, a1
	;; [unrolled: 1-line block ×4, first 2 shown]
	v_cvt_f16_f32_e32 v52, v52
	v_cvt_f16_f32_e32 v53, v53
	;; [unrolled: 1-line block ×4, first 2 shown]
	v_accvgpr_write_b32 a0, v138
	v_pack_b32_f16 v62, v52, v53
	v_accvgpr_write_b32 a1, v139
	v_pack_b32_f16 v60, v54, v58
	ds_read_u16 v58, v137 offset:224
	ds_read_u16 v124, v185 offset:272
	;; [unrolled: 1-line block ×4, first 2 shown]
	v_accvgpr_write_b32 a2, v140
	v_accvgpr_write_b32 a3, v141
	s_waitcnt lgkmcnt(0)
	v_perm_b32 v53, v53, v52, s6
	v_perm_b32 v52, v124, v58, s6
	s_nop 1
	v_mfma_f32_16x16x16f16 a[0:3], v[52:53], v[118:119], a[0:3]
	ds_read_u16 v54, v155 offset:8704
	ds_read_u16 v58, v187 offset:272
	;; [unrolled: 1-line block ×4, first 2 shown]
	s_waitcnt lgkmcnt(0)
	s_barrier
	s_nop 4
	v_accvgpr_read_b32 v45, a0
	v_cvt_f16_f32_e32 v45, v45
	v_accvgpr_read_b32 v47, a1
	v_accvgpr_read_b32 v52, a2
	;; [unrolled: 1-line block ×3, first 2 shown]
	v_cvt_f16_f32_e32 v47, v47
	v_cvt_f16_f32_e32 v52, v52
	;; [unrolled: 1-line block ×3, first 2 shown]
	v_cvt_f32_f16_e32 v138, v45
	v_cvt_f32_f16_e32 v139, v47
	;; [unrolled: 1-line block ×4, first 2 shown]
	v_perm_b32 v53, v119, v118, s6
	v_perm_b32 v52, v58, v54, s6
	v_accvgpr_write_b32 a0, v138
	v_accvgpr_write_b32 a1, v139
	;; [unrolled: 1-line block ×4, first 2 shown]
	s_nop 1
	v_mfma_f32_16x16x16f16 a[0:3], v[52:53], v[116:117], a[0:3]
	s_nop 7
	s_nop 2
	v_accvgpr_read_b32 v45, a0
	v_accvgpr_read_b32 v47, a1
	;; [unrolled: 1-line block ×4, first 2 shown]
	v_cvt_f16_f32_e32 v45, v45
	v_cvt_f16_f32_e32 v47, v47
	;; [unrolled: 1-line block ×4, first 2 shown]
	v_pack_b32_f16 v45, v45, v47
	v_pack_b32_f16 v116, v52, v53
	s_cbranch_scc0 .LBB0_73
; %bb.70:                               ;   in Loop: Header=BB0_69 Depth=2
	v_mov_b32_e32 v47, v1
	v_mov_b32_e32 v58, v28
	s_ashr_i32 s11, s10, 31
	s_and_saveexec_b64 s[14:15], s[0:1]
	s_cbranch_execnz .LBB0_68
	s_branch .LBB0_69
.LBB0_71:                               ;   in Loop: Header=BB0_15 Depth=1
	s_cbranch_execz .LBB0_14
	s_branch .LBB0_166
.LBB0_72:                               ;   in Loop: Header=BB0_15 Depth=1
	v_mov_b32_e32 v1, 0
	v_mov_b32_e32 v28, 0xfeffffff
	;; [unrolled: 1-line block ×17, first 2 shown]
.LBB0_73:                               ;   in Loop: Header=BB0_15 Depth=1
	s_lshl_b32 s10, s76, 6
	s_ashr_i32 s11, s10, 31
	s_and_saveexec_b64 s[14:15], s[0:1]
	s_cbranch_execz .LBB0_75
; %bb.74:                               ;   in Loop: Header=BB0_15 Depth=1
	s_lshl_b64 s[76:77], s[10:11], 1
	v_add_u32_e32 v35, s81, v57
	v_mov_b32_e32 v31, s77
	v_add_co_u32_e32 v33, vcc, s76, v103
	v_lshl_or_b32 v35, v35, 1, v101
	v_readlane_b32 s76, v255, 4
	v_mul_hi_u32 v37, s76, v35
	v_readlane_b32 s77, v255, 5
	v_add_u32_e32 v37, v35, v37
	v_lshrrev_b32_e32 v37, s77, v37
	v_mul_lo_u32 v37, v37, s36
	v_readlane_b32 s76, v255, 21
	v_sub_u32_e32 v35, v35, v37
	v_readlane_b32 s77, v255, 22
	v_mad_i64_i32 v[52:53], s[76:77], v35, s76, 0
	v_addc_co_u32_e32 v31, vcc, v105, v31, vcc
	v_lshlrev_b64 v[52:53], 1, v[52:53]
	v_add_co_u32_e32 v33, vcc, v33, v52
	v_addc_co_u32_e32 v31, vcc, v31, v53, vcc
	v_lshlrev_b32_e32 v35, 1, v34
	v_add_co_u32_e32 v52, vcc, v33, v35
	v_addc_co_u32_e32 v53, vcc, 0, v31, vcc
	global_load_dword v31, v[52:53], off
	s_waitcnt vmcnt(0)
	ds_write_b32 v127, v31 offset:17408
.LBB0_75:                               ;   in Loop: Header=BB0_15 Depth=1
	s_or_b64 exec, exec, s[14:15]
	s_mul_hi_i32 s15, s10, s38
	s_mul_i32 s14, s10, s38
	s_lshl_b64 s[14:15], s[14:15], 2
	s_add_u32 s14, s82, s14
	s_addc_u32 s11, s83, s15
	v_add_co_u32_e32 v31, vcc, s14, v90
	v_mov_b32_e32 v33, s11
	v_addc_co_u32_e32 v33, vcc, v33, v91, vcc
	v_lshlrev_b32_e32 v35, 2, v36
	v_add_co_u32_e32 v52, vcc, v31, v35
	v_addc_co_u32_e32 v53, vcc, 0, v33, vcc
	global_load_dwordx4 v[138:141], v[52:53], off offset:256
	v_add_co_u32_e32 v31, vcc, s14, v88
	v_mov_b32_e32 v33, s11
	v_addc_co_u32_e32 v33, vcc, v33, v89, vcc
	v_add_co_u32_e32 v52, vcc, v31, v35
	v_addc_co_u32_e32 v53, vcc, 0, v33, vcc
	v_add_u32_e32 v31, 0x2000, v133
	s_waitcnt vmcnt(0)
	ds_write_b128 v129, v[138:141]
	global_load_dwordx4 v[138:141], v[52:53], off offset:256
	s_waitcnt vmcnt(0)
	ds_write_b128 v131, v[138:141]
	s_waitcnt lgkmcnt(0)
	s_barrier
	ds_read2_b64 v[138:141], v133 offset1:4
	s_waitcnt lgkmcnt(0)
	v_mfma_f32_16x16x16f16 a[0:3], v[138:139], v[22:23], 0
	v_mfma_f32_16x16x16f16 a[0:3], v[140:141], v[24:25], a[0:3]
	ds_read2_b64 v[138:141], v133 offset0:8 offset1:12
	s_waitcnt lgkmcnt(0)
	v_mfma_f32_16x16x16f16 a[0:3], v[138:139], v[18:19], a[0:3]
	v_mfma_f32_16x16x16f16 a[4:7], v[140:141], v[20:21], a[0:3]
	ds_read2_b64 v[138:141], v31 offset0:64 offset1:68
	s_waitcnt lgkmcnt(0)
	v_mfma_f32_16x16x16f16 a[0:3], v[138:139], v[22:23], 0
	v_mfma_f32_16x16x16f16 a[0:3], v[140:141], v[24:25], a[0:3]
	ds_read2_b64 v[22:25], v31 offset0:72 offset1:76
	s_waitcnt lgkmcnt(0)
	s_barrier
	v_mfma_f32_16x16x16f16 a[0:3], v[22:23], v[18:19], a[0:3]
	v_add_co_u32_e32 v18, vcc, s14, v92
	v_mov_b32_e32 v19, s11
	v_addc_co_u32_e32 v19, vcc, v19, v93, vcc
	v_lshlrev_b32_e32 v22, 2, v100
	v_add_co_u32_e32 v18, vcc, v18, v22
	v_addc_co_u32_e32 v19, vcc, 0, v19, vcc
	v_mfma_f32_16x16x16f16 a[0:3], v[24:25], v[20:21], a[0:3]
	global_load_dwordx4 v[18:21], v[18:19], off
	s_waitcnt vmcnt(0)
	ds_write_b128 v190, v[18:21]
	v_add_co_u32_e32 v18, vcc, s14, v94
	v_mov_b32_e32 v19, s11
	v_addc_co_u32_e32 v19, vcc, v19, v95, vcc
	v_add_co_u32_e32 v18, vcc, v18, v22
	v_addc_co_u32_e32 v19, vcc, 0, v19, vcc
	global_load_dwordx4 v[18:21], v[18:19], off
	s_waitcnt vmcnt(0)
	ds_write_b128 v192, v[18:21]
	v_add_co_u32_e32 v18, vcc, s14, v96
	v_mov_b32_e32 v19, s11
	v_addc_co_u32_e32 v19, vcc, v19, v97, vcc
	v_add_co_u32_e32 v18, vcc, v18, v22
	v_addc_co_u32_e32 v19, vcc, 0, v19, vcc
	;; [unrolled: 8-line block ×3, first 2 shown]
	global_load_dwordx4 v[18:21], v[18:19], off
	s_mul_hi_i32 s11, s10, s34
	s_mul_i32 s10, s10, s34
	s_lshl_b64 s[14:15], s[10:11], 2
	s_add_u32 s11, s8, s14
	s_addc_u32 s10, s9, s15
	s_cmp_eq_u64 s[74:75], 0
	s_waitcnt vmcnt(0)
	ds_write_b128 v197, v[18:21]
	s_waitcnt lgkmcnt(0)
	s_barrier
	ds_read2_b64 v[18:21], v133 offset1:4
	s_waitcnt lgkmcnt(0)
	v_mfma_f32_16x16x16f16 a[4:7], v[18:19], v[14:15], a[4:7]
	v_mfma_f32_16x16x16f16 a[4:7], v[20:21], v[16:17], a[4:7]
	ds_read2_b64 v[18:21], v133 offset0:8 offset1:12
	s_waitcnt lgkmcnt(0)
	v_mfma_f32_16x16x16f16 a[4:7], v[18:19], v[10:11], a[4:7]
	v_mfma_f32_16x16x16f16 a[4:7], v[20:21], v[12:13], a[4:7]
	ds_read2_b64 v[18:21], v133 offset0:16 offset1:20
	;; [unrolled: 4-line block ×4, first 2 shown]
	s_waitcnt lgkmcnt(0)
	v_mfma_f32_16x16x16f16 a[0:3], v[18:19], v[14:15], a[0:3]
	s_nop 7
	v_accvgpr_read_b32 v23, a7
	v_accvgpr_read_b32 v22, a6
	v_mfma_f32_16x16x16f16 a[0:3], v[20:21], v[16:17], a[0:3]
	ds_read2_b64 v[14:17], v31 offset0:72 offset1:76
	s_waitcnt lgkmcnt(0)
	v_mfma_f32_16x16x16f16 a[0:3], v[14:15], v[10:11], a[0:3]
	v_mfma_f32_16x16x16f16 a[0:3], v[16:17], v[12:13], a[0:3]
	ds_read2_b64 v[10:13], v31 offset0:80 offset1:84
	s_waitcnt lgkmcnt(0)
	v_mfma_f32_16x16x16f16 a[0:3], v[10:11], v[6:7], a[0:3]
	v_accvgpr_read_b32 v11, a5
	v_accvgpr_read_b32 v10, a4
	v_mfma_f32_16x16x16f16 a[0:3], v[12:13], v[8:9], a[0:3]
	ds_read2_b64 v[6:9], v31 offset0:88 offset1:92
	s_waitcnt lgkmcnt(0)
	s_barrier
	v_mfma_f32_16x16x16f16 a[0:3], v[6:7], v[2:3], a[0:3]
	v_and_b32_e32 v3, 64, v252
	v_add_u32_e32 v2, 0x4400, v135
	ds_read2_b32 v[6:7], v2 offset1:1
	ds_read_b32 v2, v198 offset:17408
	ds_read_b32 v12, v199 offset:17408
	v_mfma_f32_16x16x16f16 a[0:3], v[8:9], v[4:5], a[0:3]
	v_add_u32_e32 v8, 64, v3
	v_xor_b32_e32 v3, 32, v252
	v_cmp_lt_i32_e32 vcc, v3, v8
	v_xor_b32_e32 v9, 16, v252
	v_cndmask_b32_e32 v3, v252, v3, vcc
	v_cmp_lt_i32_e32 vcc, v9, v8
	v_cndmask_b32_e32 v8, v252, v9, vcc
	v_lshlrev_b32_e32 v21, 2, v8
	s_waitcnt lgkmcnt(2)
	v_cvt_f32_f16_e32 v8, v6
	v_cvt_f32_f16_sdwa v9, v6 dst_sel:DWORD dst_unused:UNUSED_PAD src0_sel:WORD_1
	v_lshlrev_b32_e32 v3, 2, v3
	v_accvgpr_read_b32 v5, a3
	v_accvgpr_read_b32 v4, a2
	v_pk_add_f32 v[8:9], v[10:11], v[8:9]
	v_add_f32_e32 v6, 0x40051340, v8
	v_add_f32_e32 v10, 0x40051340, v9
	v_max3_f32 v14, v28, v6, v10
	s_waitcnt lgkmcnt(0)
	v_cvt_f32_f16_sdwa v11, v12 dst_sel:DWORD dst_unused:UNUSED_PAD src0_sel:WORD_1
	v_cvt_f32_f16_e32 v10, v12
	v_cvt_f32_f16_e32 v6, v7
	v_cvt_f32_f16_sdwa v7, v7 dst_sel:DWORD dst_unused:UNUSED_PAD src0_sel:WORD_1
	v_accvgpr_read_b32 v13, a1
	v_pk_add_f32 v[4:5], v[4:5], v[10:11]
	v_cvt_f32_f16_sdwa v11, v2 dst_sel:DWORD dst_unused:UNUSED_PAD src0_sel:WORD_1
	v_cvt_f32_f16_e32 v10, v2
	v_accvgpr_read_b32 v12, a0
	v_pk_add_f32 v[6:7], v[22:23], v[6:7]
	v_add_f32_e32 v17, 0x40051340, v7
	v_pk_add_f32 v[10:11], v[12:13], v[10:11]
	v_add_f32_e32 v13, 0x40051340, v6
	v_add_f32_e32 v2, 0x40051340, v10
	;; [unrolled: 1-line block ×3, first 2 shown]
	v_max3_f32 v13, v14, v13, v17
	v_add_f32_e32 v15, 0x40051340, v4
	v_add_f32_e32 v16, 0x40051340, v5
	v_max3_f32 v2, v13, v2, v12
	v_max3_f32 v2, v2, v15, v16
	ds_bpermute_b32 v12, v3, v2
	s_waitcnt lgkmcnt(0)
	v_max_f32_e32 v12, v12, v12
	v_max_f32_e32 v2, v2, v12
	ds_bpermute_b32 v12, v21, v2
	s_waitcnt lgkmcnt(0)
	v_max_f32_e32 v12, v12, v12
	v_max_f32_e32 v2, v2, v12
	v_pk_add_f32 v[8:9], v[8:9], v[2:3] op_sel_hi:[1,0] neg_lo:[0,1] neg_hi:[0,1]
	v_mul_f32_e32 v12, 0x3fb8aa3b, v9
	v_fma_f32 v13, v9, s47, -v12
	v_rndne_f32_e32 v14, v12
	v_fmac_f32_e32 v13, 0x32a5705f, v9
	v_sub_f32_e32 v12, v12, v14
	v_add_f32_e32 v12, v12, v13
	v_exp_f32_e32 v12, v12
	v_cvt_i32_f32_e32 v13, v14
	v_cmp_ngt_f32_e32 vcc, s69, v9
	v_pk_add_f32 v[6:7], v[6:7], v[2:3] op_sel_hi:[1,0] neg_lo:[0,1] neg_hi:[0,1]
	v_pk_add_f32 v[4:5], v[4:5], v[2:3] op_sel_hi:[1,0] neg_lo:[0,1] neg_hi:[0,1]
	v_ldexp_f32 v12, v12, v13
	v_cndmask_b32_e32 v12, 0, v12, vcc
	v_cmp_nlt_f32_e32 vcc, s68, v9
	v_cndmask_b32_e32 v9, v221, v12, vcc
	v_mul_f32_e32 v12, 0x3fb8aa3b, v8
	v_fma_f32 v13, v8, s47, -v12
	v_rndne_f32_e32 v14, v12
	v_fmac_f32_e32 v13, 0x32a5705f, v8
	v_sub_f32_e32 v12, v12, v14
	v_add_f32_e32 v12, v12, v13
	v_exp_f32_e32 v12, v12
	v_cvt_i32_f32_e32 v13, v14
	v_cmp_ngt_f32_e32 vcc, s69, v8
	v_ldexp_f32 v12, v12, v13
	v_cndmask_b32_e32 v12, 0, v12, vcc
	v_cmp_nlt_f32_e32 vcc, s68, v8
	v_cndmask_b32_e32 v8, v221, v12, vcc
	v_mul_f32_e32 v12, 0x3fb8aa3b, v7
	v_fma_f32 v13, v7, s47, -v12
	v_rndne_f32_e32 v14, v12
	v_fmac_f32_e32 v13, 0x32a5705f, v7
	v_sub_f32_e32 v12, v12, v14
	v_add_f32_e32 v12, v12, v13
	v_exp_f32_e32 v12, v12
	v_cvt_i32_f32_e32 v13, v14
	v_cmp_ngt_f32_e32 vcc, s69, v7
	v_ldexp_f32 v12, v12, v13
	v_cndmask_b32_e32 v12, 0, v12, vcc
	v_cmp_nlt_f32_e32 vcc, s68, v7
	v_mul_f32_e32 v7, 0x3fb8aa3b, v6
	v_cndmask_b32_e32 v31, v221, v12, vcc
	v_fma_f32 v12, v6, s47, -v7
	v_rndne_f32_e32 v13, v7
	v_fmac_f32_e32 v12, 0x32a5705f, v6
	v_sub_f32_e32 v7, v7, v13
	v_add_f32_e32 v7, v7, v12
	v_exp_f32_e32 v7, v7
	v_cvt_i32_f32_e32 v12, v13
	v_cmp_ngt_f32_e32 vcc, s69, v6
	v_ldexp_f32 v7, v7, v12
	v_cndmask_b32_e32 v7, 0, v7, vcc
	v_cmp_nlt_f32_e32 vcc, s68, v6
	v_cndmask_b32_e32 v33, v221, v7, vcc
	v_pk_add_f32 v[6:7], v[10:11], v[2:3] op_sel_hi:[1,0] neg_lo:[0,1] neg_hi:[0,1]
	v_mul_f32_e32 v10, 0x3fb8aa3b, v7
	v_fma_f32 v11, v7, s47, -v10
	v_rndne_f32_e32 v12, v10
	v_fmac_f32_e32 v11, 0x32a5705f, v7
	v_sub_f32_e32 v10, v10, v12
	v_add_f32_e32 v10, v10, v11
	v_exp_f32_e32 v10, v10
	v_cvt_i32_f32_e32 v11, v12
	v_cmp_ngt_f32_e32 vcc, s69, v7
	v_ldexp_f32 v10, v10, v11
	v_cndmask_b32_e32 v10, 0, v10, vcc
	v_cmp_nlt_f32_e32 vcc, s68, v7
	v_mul_f32_e32 v7, 0x3fb8aa3b, v6
	v_cndmask_b32_e32 v35, v221, v10, vcc
	v_fma_f32 v10, v6, s47, -v7
	v_rndne_f32_e32 v11, v7
	v_fmac_f32_e32 v10, 0x32a5705f, v6
	v_sub_f32_e32 v7, v7, v11
	v_add_f32_e32 v7, v7, v10
	v_exp_f32_e32 v7, v7
	v_cvt_i32_f32_e32 v10, v11
	v_cmp_ngt_f32_e32 vcc, s69, v6
	v_ldexp_f32 v7, v7, v10
	v_cndmask_b32_e32 v7, 0, v7, vcc
	v_cmp_nlt_f32_e32 vcc, s68, v6
	v_mul_f32_e32 v6, 0x3fb8aa3b, v5
	v_cndmask_b32_e32 v37, v221, v7, vcc
	v_fma_f32 v7, v5, s47, -v6
	v_rndne_f32_e32 v10, v6
	v_fmac_f32_e32 v7, 0x32a5705f, v5
	v_sub_f32_e32 v6, v6, v10
	v_add_f32_e32 v6, v6, v7
	v_exp_f32_e32 v6, v6
	v_cvt_i32_f32_e32 v7, v10
	v_cmp_ngt_f32_e32 vcc, s69, v5
	v_ldexp_f32 v6, v6, v7
	v_cndmask_b32_e32 v6, 0, v6, vcc
	v_cmp_nlt_f32_e32 vcc, s68, v5
	v_cndmask_b32_e32 v5, v221, v6, vcc
	v_mul_f32_e32 v6, 0x3fb8aa3b, v4
	v_fma_f32 v7, v4, s47, -v6
	v_rndne_f32_e32 v10, v6
	v_fmac_f32_e32 v7, 0x32a5705f, v4
	v_sub_f32_e32 v6, v6, v10
	v_add_f32_e32 v6, v6, v7
	v_exp_f32_e32 v6, v6
	v_cvt_i32_f32_e32 v7, v10
	v_cmp_ngt_f32_e32 vcc, s69, v4
	v_ldexp_f32 v6, v6, v7
	v_cndmask_b32_e32 v6, 0, v6, vcc
	v_cmp_nlt_f32_e32 vcc, s68, v4
	v_add_f32_e32 v4, v8, v9
	v_add_f32_e32 v4, v33, v4
	;; [unrolled: 1-line block ×4, first 2 shown]
	v_cndmask_b32_e32 v47, v221, v6, vcc
	v_add_f32_e32 v4, v35, v4
	v_add_f32_e32 v4, v47, v4
	;; [unrolled: 1-line block ×3, first 2 shown]
	v_sub_f32_e32 v4, v28, v2
	v_mul_f32_e32 v6, 0x3fb8aa3b, v4
	v_fma_f32 v7, v4, s47, -v6
	v_rndne_f32_e32 v10, v6
	v_fmac_f32_e32 v7, 0x32a5705f, v4
	v_sub_f32_e32 v6, v6, v10
	v_add_f32_e32 v6, v6, v7
	v_exp_f32_e32 v6, v6
	v_cvt_i32_f32_e32 v7, v10
	v_cmp_ngt_f32_e32 vcc, s69, v4
	v_cvt_f16_f32_e32 v5, v5
	v_ldexp_f32 v6, v6, v7
	v_cndmask_b32_e32 v6, 0, v6, vcc
	v_cmp_nlt_f32_e32 vcc, s68, v4
	v_cndmask_b32_e32 v6, v221, v6, vcc
	v_cmp_le_f32_e32 vcc, s7, v4
	v_cndmask_b32_e32 v4, 0, v6, vcc
	v_fmac_f32_e32 v22, v1, v4
	v_cvt_f16_f32_e32 v4, v4
	v_cvt_f16_f32_e32 v6, v9
	;; [unrolled: 1-line block ×3, first 2 shown]
	v_mov_b32_e32 v9, s10
	v_pk_mul_f16 v28, v4, v43 op_sel_hi:[0,1]
	v_pk_mul_f16 v1, v4, v41 op_sel_hi:[0,1]
	;; [unrolled: 1-line block ×16, first 2 shown]
	v_cvt_f16_f32_e32 v4, v8
	v_cvt_f16_f32_e32 v8, v37
	ds_bpermute_b32 v3, v3, v22
	v_pack_b32_f16 v6, v4, v6
	v_cvt_f16_f32_e32 v4, v31
	v_lshlrev_b32_e32 v31, 2, v42
	s_waitcnt lgkmcnt(0)
	v_add_f32_e32 v3, v22, v3
	v_pack_b32_f16 v7, v7, v4
	v_cvt_f16_f32_e32 v4, v35
	v_mov_b32_e32 v35, s10
	v_pack_b32_f16 v4, v8, v4
	v_cvt_f16_f32_e32 v8, v47
	v_pack_b32_f16 v5, v8, v5
	v_add_co_u32_e32 v8, vcc, s11, v80
	v_addc_co_u32_e32 v9, vcc, v9, v81, vcc
	v_add_co_u32_e32 v8, vcc, v8, v31
	v_addc_co_u32_e32 v9, vcc, 0, v9, vcc
	global_load_dwordx4 v[116:119], v[8:9], off
	v_add_co_u32_e32 v33, vcc, s11, v82
	v_addc_co_u32_e32 v35, vcc, v35, v83, vcc
	v_add_co_u32_e32 v52, vcc, v33, v31
	v_addc_co_u32_e32 v53, vcc, 0, v35, vcc
	v_add_co_u32_e32 v33, vcc, s11, v84
	v_mov_b32_e32 v35, s10
	v_addc_co_u32_e32 v35, vcc, v35, v85, vcc
	v_add_co_u32_e32 v120, vcc, v33, v31
	v_addc_co_u32_e32 v121, vcc, 0, v35, vcc
	v_add_co_u32_e32 v33, vcc, s11, v86
	v_mov_b32_e32 v35, s10
	v_addc_co_u32_e32 v35, vcc, v35, v87, vcc
	v_add_co_u32_e32 v122, vcc, v33, v31
	v_addc_co_u32_e32 v123, vcc, 0, v35, vcc
	s_cselect_b64 s[10:11], -1, 0
	s_xor_b64 s[14:15], s[2:3], -1
	s_or_b64 s[10:11], s[14:15], s[10:11]
	s_waitcnt vmcnt(0)
	ds_write_b128 v191, v[116:119]
	global_load_dwordx4 v[116:119], v[52:53], off
	s_waitcnt vmcnt(0)
	ds_write_b128 v193, v[116:119]
	global_load_dwordx4 v[116:119], v[120:121], off
	;; [unrolled: 3-line block ×3, first 2 shown]
	s_waitcnt vmcnt(0)
	ds_write_b128 v196, v[116:119]
	s_waitcnt lgkmcnt(0)
	s_barrier
	ds_read_u16 v8, v183 offset:272
	ds_read_u16 v9, v184 offset:272
	v_cvt_f32_f16_e32 v116, v28
	v_cvt_f32_f16_sdwa v117, v28 dst_sel:DWORD dst_unused:UNUSED_PAD src0_sel:WORD_1
	v_cvt_f32_f16_e32 v118, v1
	v_cvt_f32_f16_sdwa v119, v1 dst_sel:DWORD dst_unused:UNUSED_PAD src0_sel:WORD_1
	ds_read_u16 v1, v142
	ds_read_u16 v28, v142 offset:32
	v_accvgpr_write_b32 a0, v116
	v_accvgpr_write_b32 a1, v117
	;; [unrolled: 1-line block ×3, first 2 shown]
	s_waitcnt lgkmcnt(1)
	v_perm_b32 v9, v9, v1, s6
	ds_read_u16 v1, v137
	ds_read_u16 v31, v137 offset:32
	v_accvgpr_write_b32 a3, v119
	ds_read_u16 v35, v137 offset:8704
	ds_read_u16 v37, v157 offset:272
	ds_read_u16 v41, v142 offset:8704
	ds_read_u16 v43, v158 offset:272
	s_waitcnt lgkmcnt(5)
	v_perm_b32 v8, v8, v1, s6
	s_nop 1
	v_mfma_f32_16x16x16f16 a[0:3], v[8:9], v[6:7], a[0:3]
	s_nop 7
	s_nop 2
	v_accvgpr_read_b32 v1, a0
	v_cvt_f16_f32_e32 v1, v1
	v_accvgpr_read_b32 v8, a1
	v_accvgpr_read_b32 v9, a2
	;; [unrolled: 1-line block ×3, first 2 shown]
	v_cvt_f16_f32_e32 v8, v8
	v_cvt_f16_f32_e32 v9, v9
	;; [unrolled: 1-line block ×3, first 2 shown]
	v_cvt_f32_f16_e32 v116, v1
	v_cvt_f32_f16_e32 v117, v8
	;; [unrolled: 1-line block ×4, first 2 shown]
	s_waitcnt lgkmcnt(0)
	v_perm_b32 v9, v43, v41, s6
	v_perm_b32 v8, v37, v35, s6
	v_accvgpr_write_b32 a0, v116
	v_accvgpr_write_b32 a1, v117
	;; [unrolled: 1-line block ×4, first 2 shown]
	v_cvt_f32_f16_e32 v116, v25
	v_cvt_f32_f16_sdwa v117, v25 dst_sel:DWORD dst_unused:UNUSED_PAD src0_sel:WORD_1
	v_mfma_f32_16x16x16f16 a[0:3], v[8:9], v[4:5], a[0:3]
	v_cvt_f32_f16_e32 v118, v10
	v_cvt_f32_f16_sdwa v119, v10 dst_sel:DWORD dst_unused:UNUSED_PAD src0_sel:WORD_1
	s_nop 7
	s_nop 0
	v_accvgpr_read_b32 v1, a0
	v_accvgpr_read_b32 v8, a1
	;; [unrolled: 1-line block ×4, first 2 shown]
	v_cvt_f16_f32_e32 v1, v1
	v_cvt_f16_f32_e32 v8, v8
	;; [unrolled: 1-line block ×4, first 2 shown]
	v_accvgpr_write_b32 a0, v116
	v_pack_b32_f16 v8, v1, v8
	v_accvgpr_write_b32 a1, v117
	v_pack_b32_f16 v1, v9, v33
	ds_read_u16 v9, v159 offset:272
	ds_read_u16 v33, v160 offset:272
	v_accvgpr_write_b32 a2, v118
	v_accvgpr_write_b32 a3, v119
	s_waitcnt lgkmcnt(1)
	v_perm_b32 v52, v9, v31, s6
	s_waitcnt lgkmcnt(0)
	v_perm_b32 v53, v33, v28, s6
	ds_read_u16 v31, v143 offset:8704
	ds_read_u16 v33, v161 offset:272
	ds_read_u16 v35, v144 offset:8704
	ds_read_u16 v37, v162 offset:272
	v_mfma_f32_16x16x16f16 a[0:3], v[52:53], v[6:7], a[0:3]
	s_waitcnt lgkmcnt(0)
	v_perm_b32 v53, v37, v35, s6
	v_perm_b32 v52, v33, v31, s6
	s_nop 7
	v_accvgpr_read_b32 v9, a0
	v_cvt_f16_f32_e32 v9, v9
	v_accvgpr_read_b32 v10, a1
	v_accvgpr_read_b32 v25, a2
	v_accvgpr_read_b32 v28, a3
	v_cvt_f16_f32_e32 v10, v10
	v_cvt_f16_f32_e32 v25, v25
	v_cvt_f16_f32_e32 v28, v28
	v_cvt_f32_f16_e32 v116, v9
	v_cvt_f32_f16_e32 v117, v10
	v_cvt_f32_f16_e32 v118, v25
	v_cvt_f32_f16_e32 v119, v28
	v_accvgpr_write_b32 a0, v116
	v_accvgpr_write_b32 a1, v117
	v_accvgpr_write_b32 a2, v118
	v_accvgpr_write_b32 a3, v119
	v_cvt_f32_f16_e32 v116, v12
	v_cvt_f32_f16_sdwa v117, v12 dst_sel:DWORD dst_unused:UNUSED_PAD src0_sel:WORD_1
	v_mfma_f32_16x16x16f16 a[0:3], v[52:53], v[4:5], a[0:3]
	v_cvt_f32_f16_e32 v118, v11
	v_cvt_f32_f16_sdwa v119, v11 dst_sel:DWORD dst_unused:UNUSED_PAD src0_sel:WORD_1
	s_nop 7
	s_nop 0
	v_accvgpr_read_b32 v9, a0
	v_accvgpr_read_b32 v10, a1
	v_accvgpr_read_b32 v25, a2
	v_accvgpr_read_b32 v28, a3
	v_cvt_f16_f32_e32 v9, v9
	v_cvt_f16_f32_e32 v10, v10
	v_cvt_f16_f32_e32 v25, v25
	v_cvt_f16_f32_e32 v28, v28
	v_accvgpr_write_b32 a0, v116
	v_pack_b32_f16 v10, v9, v10
	v_accvgpr_write_b32 a1, v117
	v_pack_b32_f16 v9, v25, v28
	ds_read_u16 v25, v137 offset:64
	ds_read_u16 v28, v163 offset:272
	ds_read_u16 v31, v142 offset:64
	ds_read_u16 v33, v164 offset:272
	v_accvgpr_write_b32 a2, v118
	v_accvgpr_write_b32 a3, v119
	s_waitcnt lgkmcnt(2)
	v_perm_b32 v52, v28, v25, s6
	s_waitcnt lgkmcnt(0)
	v_perm_b32 v53, v33, v31, s6
	ds_read_u16 v31, v145 offset:8704
	ds_read_u16 v33, v165 offset:272
	ds_read_u16 v35, v146 offset:8704
	ds_read_u16 v37, v166 offset:272
	v_mfma_f32_16x16x16f16 a[0:3], v[52:53], v[6:7], a[0:3]
	s_waitcnt lgkmcnt(0)
	v_perm_b32 v53, v37, v35, s6
	v_perm_b32 v52, v33, v31, s6
	s_nop 7
	v_accvgpr_read_b32 v11, a0
	v_cvt_f16_f32_e32 v11, v11
	v_accvgpr_read_b32 v12, a1
	v_accvgpr_read_b32 v25, a2
	v_accvgpr_read_b32 v28, a3
	v_cvt_f16_f32_e32 v12, v12
	v_cvt_f16_f32_e32 v25, v25
	v_cvt_f16_f32_e32 v28, v28
	v_cvt_f32_f16_e32 v116, v11
	v_cvt_f32_f16_e32 v117, v12
	v_cvt_f32_f16_e32 v118, v25
	v_cvt_f32_f16_e32 v119, v28
	v_accvgpr_write_b32 a0, v116
	v_accvgpr_write_b32 a1, v117
	v_accvgpr_write_b32 a2, v118
	v_accvgpr_write_b32 a3, v119
	v_cvt_f32_f16_e32 v116, v14
	v_cvt_f32_f16_sdwa v117, v14 dst_sel:DWORD dst_unused:UNUSED_PAD src0_sel:WORD_1
	v_mfma_f32_16x16x16f16 a[0:3], v[52:53], v[4:5], a[0:3]
	v_cvt_f32_f16_e32 v118, v13
	v_cvt_f32_f16_sdwa v119, v13 dst_sel:DWORD dst_unused:UNUSED_PAD src0_sel:WORD_1
	s_nop 7
	s_nop 0
	v_accvgpr_read_b32 v11, a0
	v_accvgpr_read_b32 v12, a1
	v_accvgpr_read_b32 v25, a2
	v_accvgpr_read_b32 v28, a3
	v_cvt_f16_f32_e32 v11, v11
	v_cvt_f16_f32_e32 v12, v12
	v_cvt_f16_f32_e32 v25, v25
	v_cvt_f16_f32_e32 v28, v28
	v_accvgpr_write_b32 a0, v116
	v_pack_b32_f16 v12, v11, v12
	v_accvgpr_write_b32 a1, v117
	v_pack_b32_f16 v11, v25, v28
	ds_read_u16 v25, v137 offset:96
	ds_read_u16 v28, v167 offset:272
	;; [unrolled: 54-line block ×6, first 2 shown]
	ds_read_u16 v31, v142 offset:224
	ds_read_u16 v33, v186 offset:272
	v_accvgpr_write_b32 a2, v118
	v_accvgpr_write_b32 a3, v119
	s_waitcnt lgkmcnt(2)
	v_perm_b32 v52, v28, v25, s6
	s_waitcnt lgkmcnt(0)
	v_perm_b32 v53, v33, v31, s6
	ds_read_u16 v25, v155 offset:8704
	ds_read_u16 v28, v187 offset:272
	;; [unrolled: 1-line block ×4, first 2 shown]
	v_mfma_f32_16x16x16f16 a[0:3], v[52:53], v[6:7], a[0:3]
	s_waitcnt lgkmcnt(0)
	s_barrier
	s_nop 7
	s_nop 0
	v_accvgpr_read_b32 v6, a0
	v_cvt_f16_f32_e32 v6, v6
	v_accvgpr_read_b32 v7, a1
	v_accvgpr_read_b32 v23, a2
	;; [unrolled: 1-line block ×3, first 2 shown]
	v_cvt_f16_f32_e32 v7, v7
	v_cvt_f16_f32_e32 v23, v23
	;; [unrolled: 1-line block ×3, first 2 shown]
	v_cvt_f32_f16_e32 v116, v6
	v_cvt_f32_f16_e32 v117, v7
	;; [unrolled: 1-line block ×4, first 2 shown]
	v_perm_b32 v7, v33, v31, s6
	v_perm_b32 v6, v28, v25, s6
	v_accvgpr_write_b32 a0, v116
	v_accvgpr_write_b32 a1, v117
	;; [unrolled: 1-line block ×4, first 2 shown]
	s_nop 1
	v_mfma_f32_16x16x16f16 a[0:3], v[6:7], v[4:5], a[0:3]
	s_nop 7
	s_nop 2
	v_accvgpr_read_b32 v4, a0
	v_accvgpr_read_b32 v5, a1
	;; [unrolled: 1-line block ×4, first 2 shown]
	v_cvt_f16_f32_e32 v4, v4
	v_cvt_f16_f32_e32 v5, v5
	;; [unrolled: 1-line block ×4, first 2 shown]
	v_pack_b32_f16 v4, v4, v5
	v_pack_b32_f16 v5, v6, v7
	ds_bpermute_b32 v6, v21, v3
	s_waitcnt lgkmcnt(0)
	v_add_f32_e32 v3, v3, v6
	s_and_saveexec_b64 s[14:15], s[10:11]
	s_xor_b64 s[10:11], exec, s[14:15]
	s_andn2_saveexec_b64 s[10:11], s[10:11]
	s_cbranch_execz .LBB0_77
; %bb.76:                               ;   in Loop: Header=BB0_15 Depth=1
	v_lshlrev_b32_e32 v6, 2, v32
	global_load_dword v7, v6, s[74:75]
	v_max_f32_e32 v22, v2, v2
	s_waitcnt vmcnt(0)
	v_max_f32_e32 v6, v7, v7
	v_max_f32_e32 v6, v22, v6
	v_sub_f32_e32 v2, v2, v6
	v_mul_f32_e32 v22, 0x3fb8aa3b, v2
	v_fma_f32 v23, v2, s47, -v22
	v_rndne_f32_e32 v24, v22
	v_fmac_f32_e32 v23, 0x32a5705f, v2
	v_sub_f32_e32 v22, v22, v24
	v_add_f32_e32 v22, v22, v23
	v_exp_f32_e32 v22, v22
	v_cvt_i32_f32_e32 v23, v24
	v_cmp_ngt_f32_e32 vcc, s69, v2
	v_sub_f32_e32 v7, v7, v6
	v_ldexp_f32 v22, v22, v23
	v_cndmask_b32_e32 v22, 0, v22, vcc
	v_cmp_nlt_f32_e32 vcc, s68, v2
	v_cndmask_b32_e32 v22, v221, v22, vcc
	v_cmp_le_f32_e32 vcc, s7, v2
	v_cndmask_b32_e32 v2, 0, v22, vcc
	v_cvt_f16_f32_e32 v22, v2
	v_cmp_ngt_f32_e32 vcc, s69, v7
	v_pk_mul_f16 v8, v22, v8 op_sel_hi:[0,1]
	v_pk_mul_f16 v1, v22, v1 op_sel_hi:[0,1]
	v_pk_mul_f16 v10, v22, v10 op_sel_hi:[0,1]
	v_pk_mul_f16 v9, v22, v9 op_sel_hi:[0,1]
	v_pk_mul_f16 v12, v22, v12 op_sel_hi:[0,1]
	v_pk_mul_f16 v11, v22, v11 op_sel_hi:[0,1]
	v_pk_mul_f16 v14, v22, v14 op_sel_hi:[0,1]
	v_pk_mul_f16 v13, v22, v13 op_sel_hi:[0,1]
	v_pk_mul_f16 v16, v22, v16 op_sel_hi:[0,1]
	v_pk_mul_f16 v15, v22, v15 op_sel_hi:[0,1]
	v_pk_mul_f16 v18, v22, v18 op_sel_hi:[0,1]
	v_pk_mul_f16 v17, v22, v17 op_sel_hi:[0,1]
	v_pk_mul_f16 v20, v22, v20 op_sel_hi:[0,1]
	v_pk_mul_f16 v19, v22, v19 op_sel_hi:[0,1]
	v_pk_mul_f16 v4, v22, v4 op_sel_hi:[0,1]
	v_pk_mul_f16 v5, v22, v5 op_sel_hi:[0,1]
	v_mul_f32_e32 v22, 0x3fb8aa3b, v7
	v_fma_f32 v23, v7, s47, -v22
	v_rndne_f32_e32 v24, v22
	v_fmac_f32_e32 v23, 0x32a5705f, v7
	v_sub_f32_e32 v22, v22, v24
	v_add_f32_e32 v22, v22, v23
	v_exp_f32_e32 v22, v22
	v_cvt_i32_f32_e32 v23, v24
	v_ldexp_f32 v22, v22, v23
	v_cndmask_b32_e32 v22, 0, v22, vcc
	v_cmp_nlt_f32_e32 vcc, s68, v7
	v_cndmask_b32_e32 v7, v221, v22, vcc
	v_fmac_f32_e32 v7, v3, v2
	v_pk_mov_b32 v[2:3], v[6:7], v[6:7] op_sel:[0,1]
.LBB0_77:                               ;   in Loop: Header=BB0_15 Depth=1
	s_or_b64 exec, exec, s[10:11]
	s_and_saveexec_b64 s[10:11], s[12:13]
	s_cbranch_execz .LBB0_79
; %bb.78:                               ;   in Loop: Header=BB0_15 Depth=1
	v_add_u32_e32 v6, 0, v202
	ds_write2_b32 v6, v2, v3 offset0:64 offset1:65
.LBB0_79:                               ;   in Loop: Header=BB0_15 Depth=1
	s_or_b64 exec, exec, s[10:11]
	s_waitcnt lgkmcnt(0)
	s_barrier
	s_and_saveexec_b64 s[10:11], s[4:5]
	s_xor_b64 s[10:11], exec, s[10:11]
	s_cbranch_execz .LBB0_81
; %bb.80:                               ;   in Loop: Header=BB0_15 Depth=1
	s_barrier
	s_waitcnt lgkmcnt(0)
                                        ; implicit-def: $vgpr21
.LBB0_81:                               ;   in Loop: Header=BB0_15 Depth=1
	s_andn2_saveexec_b64 s[10:11], s[10:11]
	s_cbranch_execz .LBB0_87
; %bb.82:                               ;   in Loop: Header=BB0_15 Depth=1
	v_add_u32_e32 v3, 0, v200
	ds_read_b64 v[22:23], v3 offset:256
	s_waitcnt lgkmcnt(0)
	s_barrier
	ds_bpermute_b32 v2, v21, v22
	v_max_f32_e32 v6, v22, v22
	s_waitcnt lgkmcnt(0)
	v_max_f32_e32 v2, v2, v2
	v_max_f32_e32 v2, v6, v2
	v_sub_f32_e32 v6, v22, v2
	v_mul_f32_e32 v7, 0x3fb8aa3b, v6
	v_fma_f32 v22, v6, s47, -v7
	v_rndne_f32_e32 v24, v7
	v_fmac_f32_e32 v22, 0x32a5705f, v6
	v_sub_f32_e32 v7, v7, v24
	v_add_f32_e32 v7, v7, v22
	v_cvt_i32_f32_e32 v24, v24
	v_exp_f32_e32 v7, v7
	v_cmp_ngt_f32_e32 vcc, s69, v6
	v_ldexp_f32 v7, v7, v24
	v_cndmask_b32_e32 v7, 0, v7, vcc
	v_cmp_nlt_f32_e32 vcc, s68, v6
	v_cndmask_b32_e32 v6, v221, v7, vcc
	v_mul_f32_e32 v7, v23, v6
	ds_bpermute_b32 v7, v21, v7
	s_waitcnt lgkmcnt(0)
	v_fmac_f32_e32 v7, v23, v6
	s_mov_b64 s[14:15], exec
	v_readlane_b32 s76, v255, 16
	v_readlane_b32 s77, v255, 17
	s_and_b64 s[76:77], s[14:15], s[76:77]
	s_mov_b64 exec, s[76:77]
	s_cbranch_execz .LBB0_84
; %bb.83:                               ;   in Loop: Header=BB0_15 Depth=1
	ds_write_b64 v3, v[6:7] offset:256
.LBB0_84:                               ;   in Loop: Header=BB0_15 Depth=1
	s_or_b64 exec, exec, s[14:15]
	s_and_saveexec_b64 s[14:15], s[12:13]
	s_cbranch_execz .LBB0_86
; %bb.85:                               ;   in Loop: Header=BB0_15 Depth=1
	v_mov_b32_e32 v3, v7
	global_store_dwordx2 v[38:39], v[2:3], off
.LBB0_86:                               ;   in Loop: Header=BB0_15 Depth=1
	s_or_b64 exec, exec, s[14:15]
.LBB0_87:                               ;   in Loop: Header=BB0_15 Depth=1
	s_or_b64 exec, exec, s[10:11]
	ds_write2_b32 v201, v8, v1 offset1:1
	ds_write2_b32 v201, v10, v9 offset0:8 offset1:9
	ds_write2_b32 v201, v12, v11 offset0:16 offset1:17
	;; [unrolled: 1-line block ×7, first 2 shown]
	s_waitcnt lgkmcnt(0)
	s_barrier
	s_and_saveexec_b64 s[76:77], s[2:3]
	s_cbranch_execz .LBB0_165
; %bb.88:                               ;   in Loop: Header=BB0_15 Depth=1
	v_add_u32_e32 v2, s93, v220
	v_or_b32_e32 v1, s61, v50
	v_cmp_gt_i32_e64 s[10:11], s36, v2
	v_cmp_gt_i32_e32 vcc, s33, v1
	s_and_b64 s[10:11], s[10:11], vcc
	v_mov_b32_e32 v1, 0x47
	s_and_saveexec_b64 s[14:15], s[10:11]
	s_cbranch_execz .LBB0_90
; %bb.89:                               ;   in Loop: Header=BB0_15 Depth=1
	v_add_u32_e32 v1, 0, v49
	ds_read2st64_b32 v[4:5], v1 offset0:1 offset1:18
	ds_read2st64_b32 v[6:7], v63 offset1:17
	v_mad_u64_u32 v[2:3], s[10:11], v2, s37, v[50:51]
	v_lshl_add_u32 v2, v2, 6, v30
	v_ashrrev_i32_e32 v3, 31, v2
	s_waitcnt lgkmcnt(0)
	v_cvt_f32_f16_sdwa v9, v6 dst_sel:DWORD dst_unused:UNUSED_PAD src0_sel:WORD_1
	v_cvt_f32_f16_e32 v8, v6
	v_cvt_f32_f16_sdwa v11, v7 dst_sel:DWORD dst_unused:UNUSED_PAD src0_sel:WORD_1
	v_cvt_f32_f16_e32 v10, v7
	v_lshlrev_b64 v[2:3], 3, v[2:3]
	v_add_co_u32_e64 v2, s[10:11], s53, v2
	v_mov_b32_e32 v1, s89
	v_pk_fma_f32 v[8:9], v[4:5], v[8:9], 0 op_sel_hi:[0,1,0]
	v_mov_b32_e32 v4, v5
	v_addc_co_u32_e64 v3, s[10:11], v1, v3, s[10:11]
	v_pk_fma_f32 v[4:5], v[4:5], v[10:11], v[8:9] op_sel_hi:[0,1,1]
	v_mov_b32_e32 v1, 0
	global_store_dwordx2 v[2:3], v[4:5], off
.LBB0_90:                               ;   in Loop: Header=BB0_15 Depth=1
	s_or_b64 exec, exec, s[14:15]
	s_movk_i32 s10, 0x47
	v_cmp_gt_i32_e64 s[10:11], s10, v1
	s_mov_b64 s[14:15], -1
	s_and_saveexec_b64 s[78:79], s[10:11]
; %bb.91:                               ;   in Loop: Header=BB0_15 Depth=1
	v_cmp_eq_u32_e64 s[10:11], 0, v1
	s_orn2_b64 s[14:15], s[10:11], exec
; %bb.92:                               ;   in Loop: Header=BB0_15 Depth=1
	s_or_b64 exec, exec, s[78:79]
	s_and_b64 exec, exec, s[14:15]
	s_cbranch_execz .LBB0_165
; %bb.93:                               ;   in Loop: Header=BB0_15 Depth=1
	v_accvgpr_read_b32 v4, a10
	v_add_u32_e32 v2, s93, v56
	v_or_b32_e32 v1, s61, v4
	v_cmp_gt_i32_e64 s[10:11], s36, v2
	v_cmp_gt_i32_e64 s[14:15], s33, v1
	s_and_b64 s[10:11], s[10:11], s[14:15]
	v_mov_b32_e32 v1, 0x47
	s_and_saveexec_b64 s[14:15], s[10:11]
	s_cbranch_execz .LBB0_95
; %bb.94:                               ;   in Loop: Header=BB0_15 Depth=1
	v_accvgpr_read_b32 v1, a11
	v_accvgpr_read_b32 v4, a10
	v_add_u32_e32 v1, 0, v1
	v_mad_u64_u32 v[2:3], s[10:11], v2, s37, v[4:5]
	ds_read2st64_b32 v[4:5], v1 offset0:1 offset1:18
	v_accvgpr_read_b32 v1, a12
	ds_read2st64_b32 v[6:7], v1 offset1:17
	v_lshl_add_u32 v2, v2, 6, v30
	v_ashrrev_i32_e32 v3, 31, v2
	v_lshlrev_b64 v[2:3], 3, v[2:3]
	v_add_co_u32_e64 v2, s[10:11], s53, v2
	s_waitcnt lgkmcnt(0)
	v_cvt_f32_f16_sdwa v9, v6 dst_sel:DWORD dst_unused:UNUSED_PAD src0_sel:WORD_1
	v_cvt_f32_f16_e32 v8, v6
	v_cvt_f32_f16_sdwa v11, v7 dst_sel:DWORD dst_unused:UNUSED_PAD src0_sel:WORD_1
	v_cvt_f32_f16_e32 v10, v7
	v_mov_b32_e32 v1, s89
	v_pk_fma_f32 v[8:9], v[4:5], v[8:9], 0 op_sel_hi:[0,1,0]
	v_mov_b32_e32 v4, v5
	v_addc_co_u32_e64 v3, s[10:11], v1, v3, s[10:11]
	v_pk_fma_f32 v[4:5], v[4:5], v[10:11], v[8:9] op_sel_hi:[0,1,1]
	v_mov_b32_e32 v1, 0
	global_store_dwordx2 v[2:3], v[4:5], off
.LBB0_95:                               ;   in Loop: Header=BB0_15 Depth=1
	s_or_b64 exec, exec, s[14:15]
	s_movk_i32 s10, 0x47
	v_cmp_gt_i32_e64 s[10:11], s10, v1
	s_mov_b64 s[14:15], -1
	s_and_saveexec_b64 s[78:79], s[10:11]
; %bb.96:                               ;   in Loop: Header=BB0_15 Depth=1
	v_cmp_eq_u32_e64 s[10:11], 0, v1
	s_orn2_b64 s[14:15], s[10:11], exec
; %bb.97:                               ;   in Loop: Header=BB0_15 Depth=1
	s_or_b64 exec, exec, s[78:79]
	s_and_b64 exec, exec, s[14:15]
	s_cbranch_execz .LBB0_165
; %bb.98:                               ;   in Loop: Header=BB0_15 Depth=1
	v_accvgpr_read_b32 v1, a13
	v_accvgpr_read_b32 v4, a14
	v_add_u32_e32 v2, s93, v1
	v_or_b32_e32 v1, s61, v4
	v_cmp_gt_i32_e64 s[10:11], s36, v2
	v_cmp_gt_i32_e64 s[14:15], s33, v1
	s_and_b64 s[10:11], s[10:11], s[14:15]
	v_mov_b32_e32 v1, 0x47
	s_and_saveexec_b64 s[14:15], s[10:11]
	s_cbranch_execz .LBB0_100
; %bb.99:                               ;   in Loop: Header=BB0_15 Depth=1
	v_accvgpr_read_b32 v1, a15
	v_accvgpr_read_b32 v4, a14
	v_add_u32_e32 v1, 0, v1
	v_mad_u64_u32 v[2:3], s[10:11], v2, s37, v[4:5]
	ds_read2st64_b32 v[4:5], v1 offset0:1 offset1:18
	v_accvgpr_read_b32 v1, a16
	ds_read2st64_b32 v[6:7], v1 offset1:17
	v_lshl_add_u32 v2, v2, 6, v30
	v_ashrrev_i32_e32 v3, 31, v2
	v_lshlrev_b64 v[2:3], 3, v[2:3]
	v_add_co_u32_e64 v2, s[10:11], s53, v2
	s_waitcnt lgkmcnt(0)
	v_cvt_f32_f16_sdwa v9, v6 dst_sel:DWORD dst_unused:UNUSED_PAD src0_sel:WORD_1
	v_cvt_f32_f16_e32 v8, v6
	v_cvt_f32_f16_sdwa v11, v7 dst_sel:DWORD dst_unused:UNUSED_PAD src0_sel:WORD_1
	v_cvt_f32_f16_e32 v10, v7
	v_mov_b32_e32 v1, s89
	v_pk_fma_f32 v[8:9], v[4:5], v[8:9], 0 op_sel_hi:[0,1,0]
	v_mov_b32_e32 v4, v5
	v_addc_co_u32_e64 v3, s[10:11], v1, v3, s[10:11]
	v_pk_fma_f32 v[4:5], v[4:5], v[10:11], v[8:9] op_sel_hi:[0,1,1]
	v_mov_b32_e32 v1, 0
	global_store_dwordx2 v[2:3], v[4:5], off
.LBB0_100:                              ;   in Loop: Header=BB0_15 Depth=1
	s_or_b64 exec, exec, s[14:15]
	s_movk_i32 s10, 0x47
	v_cmp_gt_i32_e64 s[10:11], s10, v1
	s_mov_b64 s[14:15], -1
	s_and_saveexec_b64 s[78:79], s[10:11]
; %bb.101:                              ;   in Loop: Header=BB0_15 Depth=1
	v_cmp_eq_u32_e64 s[10:11], 0, v1
	s_orn2_b64 s[14:15], s[10:11], exec
; %bb.102:                              ;   in Loop: Header=BB0_15 Depth=1
	s_or_b64 exec, exec, s[78:79]
	s_and_b64 exec, exec, s[14:15]
	s_cbranch_execz .LBB0_165
; %bb.103:                              ;   in Loop: Header=BB0_15 Depth=1
	v_accvgpr_read_b32 v1, a17
	v_accvgpr_read_b32 v4, a18
	v_add_u32_e32 v2, s93, v1
	v_or_b32_e32 v1, s61, v4
	v_cmp_gt_i32_e64 s[10:11], s36, v2
	v_cmp_gt_i32_e64 s[14:15], s33, v1
	s_and_b64 s[10:11], s[10:11], s[14:15]
	v_mov_b32_e32 v1, 0x47
	s_and_saveexec_b64 s[14:15], s[10:11]
	s_cbranch_execz .LBB0_105
; %bb.104:                              ;   in Loop: Header=BB0_15 Depth=1
	v_accvgpr_read_b32 v1, a19
	v_accvgpr_read_b32 v4, a18
	v_add_u32_e32 v1, 0, v1
	v_mad_u64_u32 v[2:3], s[10:11], v2, s37, v[4:5]
	ds_read2st64_b32 v[4:5], v1 offset0:1 offset1:18
	v_accvgpr_read_b32 v1, a20
	ds_read2st64_b32 v[6:7], v1 offset1:17
	v_lshl_add_u32 v2, v2, 6, v30
	v_ashrrev_i32_e32 v3, 31, v2
	v_lshlrev_b64 v[2:3], 3, v[2:3]
	v_add_co_u32_e64 v2, s[10:11], s53, v2
	s_waitcnt lgkmcnt(0)
	v_cvt_f32_f16_sdwa v9, v6 dst_sel:DWORD dst_unused:UNUSED_PAD src0_sel:WORD_1
	v_cvt_f32_f16_e32 v8, v6
	v_cvt_f32_f16_sdwa v11, v7 dst_sel:DWORD dst_unused:UNUSED_PAD src0_sel:WORD_1
	v_cvt_f32_f16_e32 v10, v7
	v_mov_b32_e32 v1, s89
	v_pk_fma_f32 v[8:9], v[4:5], v[8:9], 0 op_sel_hi:[0,1,0]
	v_mov_b32_e32 v4, v5
	v_addc_co_u32_e64 v3, s[10:11], v1, v3, s[10:11]
	v_pk_fma_f32 v[4:5], v[4:5], v[10:11], v[8:9] op_sel_hi:[0,1,1]
	v_mov_b32_e32 v1, 0
	global_store_dwordx2 v[2:3], v[4:5], off
.LBB0_105:                              ;   in Loop: Header=BB0_15 Depth=1
	s_or_b64 exec, exec, s[14:15]
	s_movk_i32 s10, 0x47
	v_cmp_gt_i32_e64 s[10:11], s10, v1
	s_mov_b64 s[14:15], -1
	s_and_saveexec_b64 s[78:79], s[10:11]
; %bb.106:                              ;   in Loop: Header=BB0_15 Depth=1
	v_cmp_eq_u32_e64 s[10:11], 0, v1
	s_orn2_b64 s[14:15], s[10:11], exec
; %bb.107:                              ;   in Loop: Header=BB0_15 Depth=1
	s_or_b64 exec, exec, s[78:79]
	s_and_b64 exec, exec, s[14:15]
	s_cbranch_execz .LBB0_165
; %bb.108:                              ;   in Loop: Header=BB0_15 Depth=1
	v_accvgpr_read_b32 v1, a21
	v_accvgpr_read_b32 v4, a22
	v_add_u32_e32 v2, s93, v1
	v_or_b32_e32 v1, s61, v4
	v_cmp_gt_i32_e64 s[10:11], s36, v2
	v_cmp_gt_i32_e64 s[14:15], s33, v1
	s_and_b64 s[10:11], s[10:11], s[14:15]
	v_mov_b32_e32 v1, 0x47
	s_and_saveexec_b64 s[14:15], s[10:11]
	s_cbranch_execz .LBB0_110
; %bb.109:                              ;   in Loop: Header=BB0_15 Depth=1
	v_accvgpr_read_b32 v1, a23
	v_accvgpr_read_b32 v4, a22
	v_add_u32_e32 v1, 0, v1
	v_mad_u64_u32 v[2:3], s[10:11], v2, s37, v[4:5]
	ds_read2st64_b32 v[4:5], v1 offset0:1 offset1:18
	v_accvgpr_read_b32 v1, a24
	ds_read2st64_b32 v[6:7], v1 offset1:17
	v_lshl_add_u32 v2, v2, 6, v30
	v_ashrrev_i32_e32 v3, 31, v2
	v_lshlrev_b64 v[2:3], 3, v[2:3]
	v_add_co_u32_e64 v2, s[10:11], s53, v2
	s_waitcnt lgkmcnt(0)
	v_cvt_f32_f16_sdwa v9, v6 dst_sel:DWORD dst_unused:UNUSED_PAD src0_sel:WORD_1
	v_cvt_f32_f16_e32 v8, v6
	v_cvt_f32_f16_sdwa v11, v7 dst_sel:DWORD dst_unused:UNUSED_PAD src0_sel:WORD_1
	v_cvt_f32_f16_e32 v10, v7
	v_mov_b32_e32 v1, s89
	v_pk_fma_f32 v[8:9], v[4:5], v[8:9], 0 op_sel_hi:[0,1,0]
	v_mov_b32_e32 v4, v5
	v_addc_co_u32_e64 v3, s[10:11], v1, v3, s[10:11]
	v_pk_fma_f32 v[4:5], v[4:5], v[10:11], v[8:9] op_sel_hi:[0,1,1]
	v_mov_b32_e32 v1, 0
	global_store_dwordx2 v[2:3], v[4:5], off
.LBB0_110:                              ;   in Loop: Header=BB0_15 Depth=1
	;; [unrolled: 48-line block ×5, first 2 shown]
	s_or_b64 exec, exec, s[14:15]
	s_movk_i32 s10, 0x47
	v_cmp_gt_i32_e64 s[10:11], s10, v1
	s_mov_b64 s[14:15], -1
	s_and_saveexec_b64 s[78:79], s[10:11]
; %bb.126:                              ;   in Loop: Header=BB0_15 Depth=1
	v_cmp_eq_u32_e64 s[10:11], 0, v1
	s_orn2_b64 s[14:15], s[10:11], exec
; %bb.127:                              ;   in Loop: Header=BB0_15 Depth=1
	s_or_b64 exec, exec, s[78:79]
	s_and_b64 exec, exec, s[14:15]
	s_cbranch_execz .LBB0_165
; %bb.128:                              ;   in Loop: Header=BB0_15 Depth=1
	v_accvgpr_read_b32 v1, a37
	v_add_u32_e32 v2, s93, v1
	v_cmp_gt_i32_e64 s[10:11], s36, v2
	s_and_b64 s[14:15], s[10:11], vcc
	v_mov_b32_e32 v1, 0x47
	s_and_saveexec_b64 s[10:11], s[14:15]
	s_cbranch_execz .LBB0_130
; %bb.129:                              ;   in Loop: Header=BB0_15 Depth=1
	v_accvgpr_read_b32 v1, a38
	v_add_u32_e32 v1, 0, v1
	ds_read2st64_b32 v[4:5], v1 offset0:1 offset1:18
	v_accvgpr_read_b32 v1, a39
	ds_read2st64_b32 v[6:7], v1 offset1:17
	v_mad_u64_u32 v[2:3], s[14:15], v2, s37, v[50:51]
	v_lshl_add_u32 v2, v2, 6, v30
	v_ashrrev_i32_e32 v3, 31, v2
	s_waitcnt lgkmcnt(0)
	v_cvt_f32_f16_sdwa v9, v6 dst_sel:DWORD dst_unused:UNUSED_PAD src0_sel:WORD_1
	v_cvt_f32_f16_e32 v8, v6
	v_cvt_f32_f16_sdwa v11, v7 dst_sel:DWORD dst_unused:UNUSED_PAD src0_sel:WORD_1
	v_cvt_f32_f16_e32 v10, v7
	v_lshlrev_b64 v[2:3], 3, v[2:3]
	v_add_co_u32_e32 v2, vcc, s53, v2
	v_mov_b32_e32 v1, s89
	v_pk_fma_f32 v[8:9], v[4:5], v[8:9], 0 op_sel_hi:[0,1,0]
	v_mov_b32_e32 v4, v5
	v_addc_co_u32_e32 v3, vcc, v1, v3, vcc
	v_pk_fma_f32 v[4:5], v[4:5], v[10:11], v[8:9] op_sel_hi:[0,1,1]
	v_mov_b32_e32 v1, 0
	global_store_dwordx2 v[2:3], v[4:5], off
.LBB0_130:                              ;   in Loop: Header=BB0_15 Depth=1
	s_or_b64 exec, exec, s[10:11]
	s_movk_i32 s10, 0x47
	v_cmp_gt_i32_e32 vcc, s10, v1
	s_mov_b64 s[10:11], -1
	s_and_saveexec_b64 s[14:15], vcc
; %bb.131:                              ;   in Loop: Header=BB0_15 Depth=1
	v_cmp_eq_u32_e32 vcc, 0, v1
	s_orn2_b64 s[10:11], vcc, exec
; %bb.132:                              ;   in Loop: Header=BB0_15 Depth=1
	s_or_b64 exec, exec, s[14:15]
	s_and_b64 exec, exec, s[10:11]
	s_cbranch_execz .LBB0_165
; %bb.133:                              ;   in Loop: Header=BB0_15 Depth=1
	v_accvgpr_read_b32 v1, a40
	v_accvgpr_read_b32 v4, a42
	v_add_u32_e32 v2, s93, v1
	v_or_b32_e32 v1, s61, v4
	v_cmp_gt_i32_e32 vcc, s36, v2
	v_cmp_gt_i32_e64 s[10:11], s33, v1
	s_and_b64 s[14:15], vcc, s[10:11]
	v_mov_b32_e32 v1, 0x47
	s_and_saveexec_b64 s[10:11], s[14:15]
	s_cbranch_execz .LBB0_135
; %bb.134:                              ;   in Loop: Header=BB0_15 Depth=1
	v_accvgpr_read_b32 v1, a41
	v_accvgpr_read_b32 v4, a42
	v_add_u32_e32 v1, 0, v1
	v_mad_u64_u32 v[2:3], s[14:15], v2, s37, v[4:5]
	ds_read2st64_b32 v[4:5], v1 offset0:1 offset1:18
	v_accvgpr_read_b32 v1, a43
	ds_read2st64_b32 v[6:7], v1 offset1:17
	v_lshl_add_u32 v2, v2, 6, v30
	v_ashrrev_i32_e32 v3, 31, v2
	v_lshlrev_b64 v[2:3], 3, v[2:3]
	v_add_co_u32_e32 v2, vcc, s53, v2
	s_waitcnt lgkmcnt(0)
	v_cvt_f32_f16_sdwa v9, v6 dst_sel:DWORD dst_unused:UNUSED_PAD src0_sel:WORD_1
	v_cvt_f32_f16_e32 v8, v6
	v_cvt_f32_f16_sdwa v11, v7 dst_sel:DWORD dst_unused:UNUSED_PAD src0_sel:WORD_1
	v_cvt_f32_f16_e32 v10, v7
	v_mov_b32_e32 v1, s89
	v_pk_fma_f32 v[8:9], v[4:5], v[8:9], 0 op_sel_hi:[0,1,0]
	v_mov_b32_e32 v4, v5
	v_addc_co_u32_e32 v3, vcc, v1, v3, vcc
	v_pk_fma_f32 v[4:5], v[4:5], v[10:11], v[8:9] op_sel_hi:[0,1,1]
	v_mov_b32_e32 v1, 0
	global_store_dwordx2 v[2:3], v[4:5], off
.LBB0_135:                              ;   in Loop: Header=BB0_15 Depth=1
	s_or_b64 exec, exec, s[10:11]
	s_movk_i32 s10, 0x47
	v_cmp_gt_i32_e32 vcc, s10, v1
	s_mov_b64 s[10:11], -1
	s_and_saveexec_b64 s[14:15], vcc
; %bb.136:                              ;   in Loop: Header=BB0_15 Depth=1
	v_cmp_eq_u32_e32 vcc, 0, v1
	s_orn2_b64 s[10:11], vcc, exec
; %bb.137:                              ;   in Loop: Header=BB0_15 Depth=1
	s_or_b64 exec, exec, s[14:15]
	s_and_b64 exec, exec, s[10:11]
	s_cbranch_execz .LBB0_165
; %bb.138:                              ;   in Loop: Header=BB0_15 Depth=1
	v_accvgpr_read_b32 v1, a44
	v_accvgpr_read_b32 v4, a46
	v_add_u32_e32 v2, s93, v1
	v_or_b32_e32 v1, s61, v4
	v_cmp_gt_i32_e32 vcc, s36, v2
	v_cmp_gt_i32_e64 s[10:11], s33, v1
	s_and_b64 s[14:15], vcc, s[10:11]
	v_mov_b32_e32 v1, 0x47
	s_and_saveexec_b64 s[10:11], s[14:15]
	s_cbranch_execz .LBB0_140
; %bb.139:                              ;   in Loop: Header=BB0_15 Depth=1
	v_accvgpr_read_b32 v1, a45
	v_accvgpr_read_b32 v4, a46
	v_add_u32_e32 v1, 0, v1
	v_mad_u64_u32 v[2:3], s[14:15], v2, s37, v[4:5]
	ds_read2st64_b32 v[4:5], v1 offset0:1 offset1:18
	v_accvgpr_read_b32 v1, a47
	ds_read2st64_b32 v[6:7], v1 offset1:17
	v_lshl_add_u32 v2, v2, 6, v30
	v_ashrrev_i32_e32 v3, 31, v2
	v_lshlrev_b64 v[2:3], 3, v[2:3]
	v_add_co_u32_e32 v2, vcc, s53, v2
	s_waitcnt lgkmcnt(0)
	v_cvt_f32_f16_sdwa v9, v6 dst_sel:DWORD dst_unused:UNUSED_PAD src0_sel:WORD_1
	v_cvt_f32_f16_e32 v8, v6
	v_cvt_f32_f16_sdwa v11, v7 dst_sel:DWORD dst_unused:UNUSED_PAD src0_sel:WORD_1
	v_cvt_f32_f16_e32 v10, v7
	v_mov_b32_e32 v1, s89
	v_pk_fma_f32 v[8:9], v[4:5], v[8:9], 0 op_sel_hi:[0,1,0]
	v_mov_b32_e32 v4, v5
	v_addc_co_u32_e32 v3, vcc, v1, v3, vcc
	v_pk_fma_f32 v[4:5], v[4:5], v[10:11], v[8:9] op_sel_hi:[0,1,1]
	v_mov_b32_e32 v1, 0
	global_store_dwordx2 v[2:3], v[4:5], off
.LBB0_140:                              ;   in Loop: Header=BB0_15 Depth=1
	s_or_b64 exec, exec, s[10:11]
	s_movk_i32 s10, 0x47
	v_cmp_gt_i32_e32 vcc, s10, v1
	s_mov_b64 s[10:11], -1
	s_and_saveexec_b64 s[14:15], vcc
; %bb.141:                              ;   in Loop: Header=BB0_15 Depth=1
	v_cmp_eq_u32_e32 vcc, 0, v1
	s_orn2_b64 s[10:11], vcc, exec
; %bb.142:                              ;   in Loop: Header=BB0_15 Depth=1
	s_or_b64 exec, exec, s[14:15]
	s_and_b64 exec, exec, s[10:11]
	s_cbranch_execz .LBB0_165
; %bb.143:                              ;   in Loop: Header=BB0_15 Depth=1
	v_accvgpr_read_b32 v1, a48
	v_accvgpr_read_b32 v4, a50
	v_add_u32_e32 v2, s93, v1
	v_or_b32_e32 v1, s61, v4
	v_cmp_gt_i32_e32 vcc, s36, v2
	v_cmp_gt_i32_e64 s[10:11], s33, v1
	s_and_b64 s[14:15], vcc, s[10:11]
	v_mov_b32_e32 v1, 0x47
	s_and_saveexec_b64 s[10:11], s[14:15]
	s_cbranch_execz .LBB0_145
; %bb.144:                              ;   in Loop: Header=BB0_15 Depth=1
	v_accvgpr_read_b32 v1, a49
	v_accvgpr_read_b32 v4, a50
	v_add_u32_e32 v1, 0, v1
	v_mad_u64_u32 v[2:3], s[14:15], v2, s37, v[4:5]
	ds_read2st64_b32 v[4:5], v1 offset0:1 offset1:18
	v_accvgpr_read_b32 v1, a51
	ds_read2st64_b32 v[6:7], v1 offset1:17
	v_lshl_add_u32 v2, v2, 6, v30
	v_ashrrev_i32_e32 v3, 31, v2
	v_lshlrev_b64 v[2:3], 3, v[2:3]
	v_add_co_u32_e32 v2, vcc, s53, v2
	s_waitcnt lgkmcnt(0)
	v_cvt_f32_f16_sdwa v9, v6 dst_sel:DWORD dst_unused:UNUSED_PAD src0_sel:WORD_1
	v_cvt_f32_f16_e32 v8, v6
	v_cvt_f32_f16_sdwa v11, v7 dst_sel:DWORD dst_unused:UNUSED_PAD src0_sel:WORD_1
	v_cvt_f32_f16_e32 v10, v7
	v_mov_b32_e32 v1, s89
	v_pk_fma_f32 v[8:9], v[4:5], v[8:9], 0 op_sel_hi:[0,1,0]
	v_mov_b32_e32 v4, v5
	v_addc_co_u32_e32 v3, vcc, v1, v3, vcc
	v_pk_fma_f32 v[4:5], v[4:5], v[10:11], v[8:9] op_sel_hi:[0,1,1]
	v_mov_b32_e32 v1, 0
	global_store_dwordx2 v[2:3], v[4:5], off
.LBB0_145:                              ;   in Loop: Header=BB0_15 Depth=1
	s_or_b64 exec, exec, s[10:11]
	s_movk_i32 s10, 0x47
	v_cmp_gt_i32_e32 vcc, s10, v1
	s_mov_b64 s[10:11], -1
	s_and_saveexec_b64 s[14:15], vcc
; %bb.146:                              ;   in Loop: Header=BB0_15 Depth=1
	v_cmp_eq_u32_e32 vcc, 0, v1
	s_orn2_b64 s[10:11], vcc, exec
; %bb.147:                              ;   in Loop: Header=BB0_15 Depth=1
	s_or_b64 exec, exec, s[14:15]
	s_and_b64 exec, exec, s[10:11]
	s_cbranch_execz .LBB0_165
; %bb.148:                              ;   in Loop: Header=BB0_15 Depth=1
	v_accvgpr_read_b32 v1, a52
	v_accvgpr_read_b32 v4, a54
	v_add_u32_e32 v2, s93, v1
	v_or_b32_e32 v1, s61, v4
	v_cmp_gt_i32_e32 vcc, s36, v2
	v_cmp_gt_i32_e64 s[10:11], s33, v1
	s_and_b64 s[14:15], vcc, s[10:11]
	v_mov_b32_e32 v1, 0x47
	s_and_saveexec_b64 s[10:11], s[14:15]
	s_cbranch_execz .LBB0_150
; %bb.149:                              ;   in Loop: Header=BB0_15 Depth=1
	v_accvgpr_read_b32 v1, a53
	v_accvgpr_read_b32 v4, a54
	v_add_u32_e32 v1, 0, v1
	v_mad_u64_u32 v[2:3], s[14:15], v2, s37, v[4:5]
	ds_read2st64_b32 v[4:5], v1 offset0:1 offset1:18
	v_accvgpr_read_b32 v1, a55
	ds_read2st64_b32 v[6:7], v1 offset1:17
	v_lshl_add_u32 v2, v2, 6, v30
	v_ashrrev_i32_e32 v3, 31, v2
	v_lshlrev_b64 v[2:3], 3, v[2:3]
	v_add_co_u32_e32 v2, vcc, s53, v2
	s_waitcnt lgkmcnt(0)
	v_cvt_f32_f16_sdwa v9, v6 dst_sel:DWORD dst_unused:UNUSED_PAD src0_sel:WORD_1
	v_cvt_f32_f16_e32 v8, v6
	v_cvt_f32_f16_sdwa v11, v7 dst_sel:DWORD dst_unused:UNUSED_PAD src0_sel:WORD_1
	v_cvt_f32_f16_e32 v10, v7
	v_mov_b32_e32 v1, s89
	v_pk_fma_f32 v[8:9], v[4:5], v[8:9], 0 op_sel_hi:[0,1,0]
	v_mov_b32_e32 v4, v5
	v_addc_co_u32_e32 v3, vcc, v1, v3, vcc
	v_pk_fma_f32 v[4:5], v[4:5], v[10:11], v[8:9] op_sel_hi:[0,1,1]
	v_mov_b32_e32 v1, 0
	global_store_dwordx2 v[2:3], v[4:5], off
.LBB0_150:                              ;   in Loop: Header=BB0_15 Depth=1
	s_or_b64 exec, exec, s[10:11]
	s_movk_i32 s10, 0x47
	v_cmp_gt_i32_e32 vcc, s10, v1
	s_mov_b64 s[10:11], -1
	s_and_saveexec_b64 s[14:15], vcc
; %bb.151:                              ;   in Loop: Header=BB0_15 Depth=1
	v_cmp_eq_u32_e32 vcc, 0, v1
	s_orn2_b64 s[10:11], vcc, exec
; %bb.152:                              ;   in Loop: Header=BB0_15 Depth=1
	s_or_b64 exec, exec, s[14:15]
	s_and_b64 exec, exec, s[10:11]
	s_cbranch_execz .LBB0_165
; %bb.153:                              ;   in Loop: Header=BB0_15 Depth=1
	v_accvgpr_read_b32 v1, a56
	v_accvgpr_read_b32 v4, a58
	v_add_u32_e32 v2, s93, v1
	v_or_b32_e32 v1, s61, v4
	v_cmp_gt_i32_e32 vcc, s36, v2
	v_cmp_gt_i32_e64 s[10:11], s33, v1
	s_and_b64 s[14:15], vcc, s[10:11]
	v_mov_b32_e32 v1, 0x47
	s_and_saveexec_b64 s[10:11], s[14:15]
	s_cbranch_execz .LBB0_155
; %bb.154:                              ;   in Loop: Header=BB0_15 Depth=1
	v_accvgpr_read_b32 v1, a57
	v_accvgpr_read_b32 v4, a58
	v_add_u32_e32 v1, 0, v1
	v_mad_u64_u32 v[2:3], s[14:15], v2, s37, v[4:5]
	ds_read2st64_b32 v[4:5], v1 offset0:1 offset1:18
	v_accvgpr_read_b32 v1, a59
	ds_read2st64_b32 v[6:7], v1 offset1:17
	v_lshl_add_u32 v2, v2, 6, v30
	v_ashrrev_i32_e32 v3, 31, v2
	v_lshlrev_b64 v[2:3], 3, v[2:3]
	v_add_co_u32_e32 v2, vcc, s53, v2
	s_waitcnt lgkmcnt(0)
	v_cvt_f32_f16_sdwa v9, v6 dst_sel:DWORD dst_unused:UNUSED_PAD src0_sel:WORD_1
	v_cvt_f32_f16_e32 v8, v6
	v_cvt_f32_f16_sdwa v11, v7 dst_sel:DWORD dst_unused:UNUSED_PAD src0_sel:WORD_1
	v_cvt_f32_f16_e32 v10, v7
	v_mov_b32_e32 v1, s89
	v_pk_fma_f32 v[8:9], v[4:5], v[8:9], 0 op_sel_hi:[0,1,0]
	v_mov_b32_e32 v4, v5
	v_addc_co_u32_e32 v3, vcc, v1, v3, vcc
	v_pk_fma_f32 v[4:5], v[4:5], v[10:11], v[8:9] op_sel_hi:[0,1,1]
	v_mov_b32_e32 v1, 0
	global_store_dwordx2 v[2:3], v[4:5], off
.LBB0_155:                              ;   in Loop: Header=BB0_15 Depth=1
	s_or_b64 exec, exec, s[10:11]
	s_movk_i32 s10, 0x47
	v_cmp_gt_i32_e32 vcc, s10, v1
	s_mov_b64 s[10:11], -1
	s_and_saveexec_b64 s[14:15], vcc
; %bb.156:                              ;   in Loop: Header=BB0_15 Depth=1
	v_cmp_eq_u32_e32 vcc, 0, v1
	s_orn2_b64 s[10:11], vcc, exec
; %bb.157:                              ;   in Loop: Header=BB0_15 Depth=1
	s_or_b64 exec, exec, s[14:15]
	s_and_b64 exec, exec, s[10:11]
	s_cbranch_execz .LBB0_165
; %bb.158:                              ;   in Loop: Header=BB0_15 Depth=1
	v_accvgpr_read_b32 v1, a60
	v_accvgpr_read_b32 v4, a62
	v_add_u32_e32 v2, s93, v1
	v_or_b32_e32 v1, s61, v4
	v_cmp_gt_i32_e32 vcc, s36, v2
	v_cmp_gt_i32_e64 s[10:11], s33, v1
	s_and_b64 s[14:15], vcc, s[10:11]
	v_mov_b32_e32 v1, 0x47
	s_and_saveexec_b64 s[10:11], s[14:15]
	s_cbranch_execz .LBB0_160
; %bb.159:                              ;   in Loop: Header=BB0_15 Depth=1
	v_accvgpr_read_b32 v1, a61
	v_accvgpr_read_b32 v4, a62
	v_add_u32_e32 v1, 0, v1
	v_mad_u64_u32 v[2:3], s[14:15], v2, s37, v[4:5]
	ds_read2st64_b32 v[4:5], v1 offset0:1 offset1:18
	v_accvgpr_read_b32 v1, a63
	ds_read2st64_b32 v[6:7], v1 offset1:17
	v_lshl_add_u32 v2, v2, 6, v30
	v_ashrrev_i32_e32 v3, 31, v2
	v_lshlrev_b64 v[2:3], 3, v[2:3]
	v_add_co_u32_e32 v2, vcc, s53, v2
	s_waitcnt lgkmcnt(0)
	v_cvt_f32_f16_sdwa v9, v6 dst_sel:DWORD dst_unused:UNUSED_PAD src0_sel:WORD_1
	v_cvt_f32_f16_e32 v8, v6
	v_cvt_f32_f16_sdwa v11, v7 dst_sel:DWORD dst_unused:UNUSED_PAD src0_sel:WORD_1
	v_cvt_f32_f16_e32 v10, v7
	v_mov_b32_e32 v1, s89
	v_pk_fma_f32 v[8:9], v[4:5], v[8:9], 0 op_sel_hi:[0,1,0]
	v_mov_b32_e32 v4, v5
	v_addc_co_u32_e32 v3, vcc, v1, v3, vcc
	v_pk_fma_f32 v[4:5], v[4:5], v[10:11], v[8:9] op_sel_hi:[0,1,1]
	v_mov_b32_e32 v1, 0
	global_store_dwordx2 v[2:3], v[4:5], off
.LBB0_160:                              ;   in Loop: Header=BB0_15 Depth=1
	s_or_b64 exec, exec, s[10:11]
	s_movk_i32 s10, 0x47
	v_cmp_gt_i32_e32 vcc, s10, v1
	s_mov_b64 s[10:11], -1
	s_and_saveexec_b64 s[14:15], vcc
; %bb.161:                              ;   in Loop: Header=BB0_15 Depth=1
	v_cmp_eq_u32_e32 vcc, 0, v1
	s_orn2_b64 s[10:11], vcc, exec
; %bb.162:                              ;   in Loop: Header=BB0_15 Depth=1
	s_or_b64 exec, exec, s[14:15]
	s_and_b64 exec, exec, s[10:11]
	s_cbranch_execz .LBB0_165
; %bb.163:                              ;   in Loop: Header=BB0_15 Depth=1
	v_accvgpr_read_b32 v1, a64
	v_accvgpr_read_b32 v2, a66
	v_add_u32_e32 v1, s93, v1
	v_or_b32_e32 v2, s61, v2
	v_cmp_gt_i32_e32 vcc, s36, v1
	v_cmp_gt_i32_e64 s[10:11], s33, v2
	s_and_b64 s[10:11], vcc, s[10:11]
	s_and_b64 exec, exec, s[10:11]
	s_cbranch_execz .LBB0_165
; %bb.164:                              ;   in Loop: Header=BB0_15 Depth=1
	v_accvgpr_read_b32 v2, a66
	v_mad_u64_u32 v[2:3], s[10:11], v1, s37, v[2:3]
	v_accvgpr_read_b32 v1, a65
	v_add_u32_e32 v1, 0, v1
	ds_read2st64_b32 v[4:5], v1 offset0:1 offset1:18
	v_accvgpr_read_b32 v1, a67
	ds_read2st64_b32 v[6:7], v1 offset1:17
	v_lshl_add_u32 v2, v2, 6, v30
	v_ashrrev_i32_e32 v3, 31, v2
	v_lshlrev_b64 v[2:3], 3, v[2:3]
	v_add_co_u32_e32 v2, vcc, s53, v2
	s_waitcnt lgkmcnt(0)
	v_cvt_f32_f16_sdwa v9, v6 dst_sel:DWORD dst_unused:UNUSED_PAD src0_sel:WORD_1
	v_cvt_f32_f16_e32 v8, v6
	v_cvt_f32_f16_sdwa v11, v7 dst_sel:DWORD dst_unused:UNUSED_PAD src0_sel:WORD_1
	v_cvt_f32_f16_e32 v10, v7
	v_mov_b32_e32 v1, s89
	v_pk_fma_f32 v[8:9], v[4:5], v[8:9], 0 op_sel_hi:[0,1,0]
	v_mov_b32_e32 v4, v5
	v_addc_co_u32_e32 v3, vcc, v1, v3, vcc
	v_pk_fma_f32 v[4:5], v[4:5], v[10:11], v[8:9] op_sel_hi:[0,1,1]
	global_store_dwordx2 v[2:3], v[4:5], off
.LBB0_165:                              ;   in Loop: Header=BB0_15 Depth=1
	s_or_b64 exec, exec, s[76:77]
	s_barrier
	s_branch .LBB0_14
.LBB0_166:                              ;   in Loop: Header=BB0_15 Depth=1
	s_lshl_b32 s78, s81, 1
	v_add_u32_e32 v1, s78, v79
	v_cmp_gt_i32_e64 s[10:11], s33, v29
	v_cmp_le_i32_e32 vcc, s36, v1
	s_xor_b64 s[14:15], s[10:11], -1
	s_or_b64 s[10:11], vcc, s[14:15]
	s_and_saveexec_b64 s[76:77], s[10:11]
	s_xor_b64 s[10:11], exec, s[76:77]
	s_cbranch_execz .LBB0_168
; %bb.167:                              ;   in Loop: Header=BB0_15 Depth=1
	ds_write_b32 v254, v253
                                        ; implicit-def: $vgpr1
.LBB0_168:                              ;   in Loop: Header=BB0_15 Depth=1
	s_andn2_saveexec_b64 s[10:11], s[10:11]
	s_cbranch_execz .LBB0_170
; %bb.169:                              ;   in Loop: Header=BB0_15 Depth=1
	v_mad_u64_u32 v[2:3], s[76:77], v1, s57, v[102:103]
	v_ashrrev_i32_e32 v3, 31, v2
	v_lshlrev_b64 v[2:3], 3, v[2:3]
	v_mov_b32_e32 v1, s44
	v_add_co_u32_e32 v2, vcc, s67, v2
	v_addc_co_u32_e32 v3, vcc, v1, v3, vcc
	global_load_dwordx2 v[2:3], v[2:3], off
	s_waitcnt vmcnt(0)
	v_cvt_f16_f32_e32 v1, v2
	v_cvt_f16_f32_e32 v2, v3
	v_pack_b32_f16 v1, v1, v2
	v_pk_mul_f16 v1, v51, v1
	ds_write_b32 v254, v1
.LBB0_170:                              ;   in Loop: Header=BB0_15 Depth=1
	s_or_b64 exec, exec, s[10:11]
	v_add_u32_e32 v1, s78, v249
	v_or_b32_e32 v2, s61, v78
	v_cmp_le_i32_e32 vcc, s36, v1
	v_cmp_le_i32_e64 s[10:11], s33, v2
	s_or_b64 s[10:11], vcc, s[10:11]
	s_and_saveexec_b64 s[76:77], s[10:11]
	s_xor_b64 s[10:11], exec, s[76:77]
	s_cbranch_execz .LBB0_172
; %bb.171:                              ;   in Loop: Header=BB0_15 Depth=1
	ds_write_b32 v203, v253 offset:1600
                                        ; implicit-def: $vgpr1
.LBB0_172:                              ;   in Loop: Header=BB0_15 Depth=1
	s_andn2_saveexec_b64 s[10:11], s[10:11]
	s_cbranch_execz .LBB0_174
; %bb.173:                              ;   in Loop: Header=BB0_15 Depth=1
	v_mad_u64_u32 v[2:3], s[76:77], v1, s57, v[104:105]
	v_ashrrev_i32_e32 v3, 31, v2
	v_lshlrev_b64 v[2:3], 3, v[2:3]
	v_mov_b32_e32 v1, s44
	v_add_co_u32_e32 v2, vcc, s67, v2
	v_addc_co_u32_e32 v3, vcc, v1, v3, vcc
	global_load_dwordx2 v[2:3], v[2:3], off
	s_waitcnt vmcnt(0)
	v_cvt_f16_f32_e32 v1, v2
	v_cvt_f16_f32_e32 v2, v3
	v_pack_b32_f16 v1, v1, v2
	v_pk_mul_f16 v1, v51, v1
	ds_write_b32 v203, v1 offset:1600
.LBB0_174:                              ;   in Loop: Header=BB0_15 Depth=1
	s_or_b64 exec, exec, s[10:11]
	v_add_u32_e32 v1, s78, v76
	v_or_b32_e32 v2, s61, v74
	v_cmp_le_i32_e32 vcc, s36, v1
	v_cmp_le_i32_e64 s[10:11], s33, v2
	s_or_b64 s[10:11], vcc, s[10:11]
	s_and_saveexec_b64 s[76:77], s[10:11]
	s_xor_b64 s[10:11], exec, s[76:77]
	s_cbranch_execz .LBB0_176
; %bb.175:                              ;   in Loop: Header=BB0_15 Depth=1
	ds_write_b32 v203, v253 offset:3200
                                        ; implicit-def: $vgpr1
.LBB0_176:                              ;   in Loop: Header=BB0_15 Depth=1
	s_andn2_saveexec_b64 s[10:11], s[10:11]
	s_cbranch_execz .LBB0_178
; %bb.177:                              ;   in Loop: Header=BB0_15 Depth=1
	v_mad_u64_u32 v[2:3], s[76:77], v1, s57, v[106:107]
	v_ashrrev_i32_e32 v3, 31, v2
	v_lshlrev_b64 v[2:3], 3, v[2:3]
	v_mov_b32_e32 v1, s44
	v_add_co_u32_e32 v2, vcc, s67, v2
	v_addc_co_u32_e32 v3, vcc, v1, v3, vcc
	global_load_dwordx2 v[2:3], v[2:3], off
	s_waitcnt vmcnt(0)
	v_cvt_f16_f32_e32 v1, v2
	v_cvt_f16_f32_e32 v2, v3
	v_pack_b32_f16 v1, v1, v2
	v_pk_mul_f16 v1, v51, v1
	ds_write_b32 v203, v1 offset:3200
.LBB0_178:                              ;   in Loop: Header=BB0_15 Depth=1
	;; [unrolled: 30-line block ×3, first 2 shown]
	s_or_b64 exec, exec, s[10:11]
	v_add_u32_e32 v1, s78, v243
	v_cmp_le_i32_e32 vcc, s36, v1
	s_or_b64 s[10:11], vcc, s[14:15]
	s_and_saveexec_b64 s[14:15], s[10:11]
	s_xor_b64 s[10:11], exec, s[14:15]
	s_cbranch_execz .LBB0_184
; %bb.183:                              ;   in Loop: Header=BB0_15 Depth=1
	ds_write_b32 v203, v253 offset:6400
                                        ; implicit-def: $vgpr1
.LBB0_184:                              ;   in Loop: Header=BB0_15 Depth=1
	s_andn2_saveexec_b64 s[10:11], s[10:11]
	s_cbranch_execz .LBB0_186
; %bb.185:                              ;   in Loop: Header=BB0_15 Depth=1
	v_mad_u64_u32 v[2:3], s[14:15], v1, s57, v[102:103]
	v_ashrrev_i32_e32 v3, 31, v2
	v_lshlrev_b64 v[2:3], 3, v[2:3]
	v_mov_b32_e32 v1, s44
	v_add_co_u32_e32 v2, vcc, s67, v2
	v_addc_co_u32_e32 v3, vcc, v1, v3, vcc
	global_load_dwordx2 v[2:3], v[2:3], off
	s_waitcnt vmcnt(0)
	v_cvt_f16_f32_e32 v1, v2
	v_cvt_f16_f32_e32 v2, v3
	v_pack_b32_f16 v1, v1, v2
	v_pk_mul_f16 v1, v51, v1
	ds_write_b32 v203, v1 offset:6400
.LBB0_186:                              ;   in Loop: Header=BB0_15 Depth=1
	s_or_b64 exec, exec, s[10:11]
	v_add_u32_e32 v1, s78, v70
	v_or_b32_e32 v2, s61, v240
	v_cmp_le_i32_e32 vcc, s36, v1
	v_cmp_le_i32_e64 s[10:11], s33, v2
	s_or_b64 s[10:11], vcc, s[10:11]
	s_and_saveexec_b64 s[14:15], s[10:11]
	s_xor_b64 s[10:11], exec, s[14:15]
	s_cbranch_execz .LBB0_188
; %bb.187:                              ;   in Loop: Header=BB0_15 Depth=1
	ds_write_b32 v203, v253 offset:8000
                                        ; implicit-def: $vgpr1
.LBB0_188:                              ;   in Loop: Header=BB0_15 Depth=1
	s_andn2_saveexec_b64 s[10:11], s[10:11]
	s_cbranch_execz .LBB0_190
; %bb.189:                              ;   in Loop: Header=BB0_15 Depth=1
	v_mad_u64_u32 v[2:3], s[14:15], v1, s57, v[110:111]
	v_ashrrev_i32_e32 v3, 31, v2
	v_lshlrev_b64 v[2:3], 3, v[2:3]
	v_mov_b32_e32 v1, s44
	v_add_co_u32_e32 v2, vcc, s67, v2
	v_addc_co_u32_e32 v3, vcc, v1, v3, vcc
	global_load_dwordx2 v[2:3], v[2:3], off
	s_waitcnt vmcnt(0)
	v_cvt_f16_f32_e32 v1, v2
	v_cvt_f16_f32_e32 v2, v3
	v_pack_b32_f16 v1, v1, v2
	v_pk_mul_f16 v1, v51, v1
	ds_write_b32 v203, v1 offset:8000
.LBB0_190:                              ;   in Loop: Header=BB0_15 Depth=1
	s_or_b64 exec, exec, s[10:11]
	v_add_u32_e32 v1, s78, v68
	v_or_b32_e32 v2, s61, v237
	v_cmp_le_i32_e32 vcc, s36, v1
	v_cmp_le_i32_e64 s[10:11], s33, v2
	s_or_b64 s[10:11], vcc, s[10:11]
	s_and_saveexec_b64 s[14:15], s[10:11]
	s_xor_b64 s[10:11], exec, s[14:15]
	s_cbranch_execz .LBB0_192
; %bb.191:                              ;   in Loop: Header=BB0_15 Depth=1
	ds_write_b32 v203, v253 offset:9600
                                        ; implicit-def: $vgpr1
.LBB0_192:                              ;   in Loop: Header=BB0_15 Depth=1
	s_andn2_saveexec_b64 s[10:11], s[10:11]
	s_cbranch_execz .LBB0_194
; %bb.193:                              ;   in Loop: Header=BB0_15 Depth=1
	v_mad_u64_u32 v[2:3], s[14:15], v1, s57, v[112:113]
	v_ashrrev_i32_e32 v3, 31, v2
	v_lshlrev_b64 v[2:3], 3, v[2:3]
	v_mov_b32_e32 v1, s44
	v_add_co_u32_e32 v2, vcc, s67, v2
	v_addc_co_u32_e32 v3, vcc, v1, v3, vcc
	global_load_dwordx2 v[2:3], v[2:3], off
	s_waitcnt vmcnt(0)
	v_cvt_f16_f32_e32 v1, v2
	v_cvt_f16_f32_e32 v2, v3
	v_pack_b32_f16 v1, v1, v2
	v_pk_mul_f16 v1, v51, v1
	ds_write_b32 v203, v1 offset:9600
.LBB0_194:                              ;   in Loop: Header=BB0_15 Depth=1
	s_or_b64 exec, exec, s[10:11]
	v_add_u32_e32 v1, s78, v66
	v_or_b32_e32 v2, s61, v234
	v_cmp_le_i32_e32 vcc, s36, v1
	v_cmp_le_i32_e64 s[10:11], s33, v2
	s_or_b64 s[10:11], vcc, s[10:11]
	s_and_saveexec_b64 s[14:15], s[10:11]
	s_xor_b64 s[10:11], exec, s[14:15]
	s_cbranch_execz .LBB0_196
; %bb.195:                              ;   in Loop: Header=BB0_15 Depth=1
	ds_write_b32 v203, v253 offset:11200
                                        ; implicit-def: $vgpr1
.LBB0_196:                              ;   in Loop: Header=BB0_15 Depth=1
	s_andn2_saveexec_b64 s[10:11], s[10:11]
	s_cbranch_execz .LBB0_198
; %bb.197:                              ;   in Loop: Header=BB0_15 Depth=1
	v_mad_u64_u32 v[2:3], s[14:15], v1, s57, v[114:115]
	v_ashrrev_i32_e32 v3, 31, v2
	v_lshlrev_b64 v[2:3], 3, v[2:3]
	v_mov_b32_e32 v1, s44
	v_add_co_u32_e32 v2, vcc, s67, v2
	v_addc_co_u32_e32 v3, vcc, v1, v3, vcc
	global_load_dwordx2 v[2:3], v[2:3], off
	s_waitcnt vmcnt(0)
	v_cvt_f16_f32_e32 v1, v2
	v_cvt_f16_f32_e32 v2, v3
	v_pack_b32_f16 v1, v1, v2
	v_pk_mul_f16 v1, v51, v1
	ds_write_b32 v203, v1 offset:11200
.LBB0_198:                              ;   in Loop: Header=BB0_15 Depth=1
	s_or_b64 exec, exec, s[10:11]
	v_or_b32_e32 v2, s61, v209
	v_add_u32_e32 v1, s78, v208
	v_cmp_gt_i32_e64 s[10:11], s33, v2
	v_cmp_le_i32_e32 vcc, s36, v1
	s_xor_b64 s[14:15], s[10:11], -1
	s_or_b64 s[10:11], vcc, s[14:15]
	s_and_saveexec_b64 s[76:77], s[10:11]
	s_xor_b64 s[10:11], exec, s[76:77]
	s_cbranch_execz .LBB0_200
; %bb.199:                              ;   in Loop: Header=BB0_15 Depth=1
	ds_write_b32 v204, v253 offset:256
                                        ; implicit-def: $vgpr1
.LBB0_200:                              ;   in Loop: Header=BB0_15 Depth=1
	s_andn2_saveexec_b64 s[10:11], s[10:11]
	s_cbranch_execz .LBB0_202
; %bb.201:                              ;   in Loop: Header=BB0_15 Depth=1
	v_mad_u64_u32 v[2:3], s[76:77], v1, s57, v[44:45]
	v_ashrrev_i32_e32 v3, 31, v2
	v_lshlrev_b64 v[2:3], 3, v[2:3]
	v_mov_b32_e32 v1, s44
	v_add_co_u32_e32 v2, vcc, s67, v2
	v_addc_co_u32_e32 v3, vcc, v1, v3, vcc
	global_load_dwordx2 v[2:3], v[2:3], off
	s_waitcnt vmcnt(0)
	v_cvt_f16_f32_e32 v1, v2
	v_cvt_f16_f32_e32 v2, v3
	v_pack_b32_f16 v1, v1, v2
	v_pk_mul_f16 v1, v51, v1
	ds_write_b32 v204, v1 offset:256
.LBB0_202:                              ;   in Loop: Header=BB0_15 Depth=1
	s_or_b64 exec, exec, s[10:11]
	v_add_u32_e32 v1, s78, v205
	v_or_b32_e32 v2, s61, v206
	v_cmp_le_i32_e32 vcc, s36, v1
	v_cmp_le_i32_e64 s[10:11], s33, v2
	s_or_b64 s[10:11], vcc, s[10:11]
	s_and_saveexec_b64 s[76:77], s[10:11]
	s_xor_b64 s[10:11], exec, s[76:77]
	s_cbranch_execz .LBB0_204
; %bb.203:                              ;   in Loop: Header=BB0_15 Depth=1
	ds_write_b32 v204, v253 offset:3456
                                        ; implicit-def: $vgpr1
.LBB0_204:                              ;   in Loop: Header=BB0_15 Depth=1
	s_andn2_saveexec_b64 s[10:11], s[10:11]
	s_cbranch_execz .LBB0_206
; %bb.205:                              ;   in Loop: Header=BB0_15 Depth=1
	v_mad_u64_u32 v[2:3], s[76:77], v1, s57, v[46:47]
	v_ashrrev_i32_e32 v3, 31, v2
	v_lshlrev_b64 v[2:3], 3, v[2:3]
	v_mov_b32_e32 v1, s44
	v_add_co_u32_e32 v2, vcc, s67, v2
	v_addc_co_u32_e32 v3, vcc, v1, v3, vcc
	global_load_dwordx2 v[2:3], v[2:3], off
	s_waitcnt vmcnt(0)
	v_cvt_f16_f32_e32 v1, v2
	v_cvt_f16_f32_e32 v2, v3
	v_pack_b32_f16 v1, v1, v2
	v_pk_mul_f16 v1, v51, v1
	ds_write_b32 v204, v1 offset:3456
.LBB0_206:                              ;   in Loop: Header=BB0_15 Depth=1
	s_or_b64 exec, exec, s[10:11]
	v_add_u32_e32 v1, s78, v207
	v_cmp_le_i32_e32 vcc, s36, v1
	s_or_b64 s[10:11], vcc, s[14:15]
	s_and_saveexec_b64 s[14:15], s[10:11]
	s_xor_b64 s[10:11], exec, s[14:15]
	s_cbranch_execz .LBB0_208
; %bb.207:                              ;   in Loop: Header=BB0_15 Depth=1
	ds_write_b32 v204, v253 offset:6656
                                        ; implicit-def: $vgpr1
.LBB0_208:                              ;   in Loop: Header=BB0_15 Depth=1
	s_andn2_saveexec_b64 s[10:11], s[10:11]
	s_cbranch_execz .LBB0_210
; %bb.209:                              ;   in Loop: Header=BB0_15 Depth=1
	v_mad_u64_u32 v[2:3], s[14:15], v1, s57, v[44:45]
	v_ashrrev_i32_e32 v3, 31, v2
	v_lshlrev_b64 v[2:3], 3, v[2:3]
	v_mov_b32_e32 v1, s44
	v_add_co_u32_e32 v2, vcc, s67, v2
	v_addc_co_u32_e32 v3, vcc, v1, v3, vcc
	global_load_dwordx2 v[2:3], v[2:3], off
	s_waitcnt vmcnt(0)
	v_cvt_f16_f32_e32 v1, v2
	v_cvt_f16_f32_e32 v2, v3
	v_pack_b32_f16 v1, v1, v2
	v_pk_mul_f16 v1, v51, v1
	ds_write_b32 v204, v1 offset:6656
.LBB0_210:                              ;   in Loop: Header=BB0_15 Depth=1
	s_or_b64 exec, exec, s[10:11]
	v_add_u32_e32 v1, s78, v210
	v_or_b32_e32 v2, s61, v211
	v_cmp_le_i32_e32 vcc, s36, v1
	v_cmp_le_i32_e64 s[10:11], s33, v2
	s_or_b64 s[10:11], vcc, s[10:11]
	s_and_saveexec_b64 s[14:15], s[10:11]
	s_xor_b64 s[10:11], exec, s[14:15]
	s_cbranch_execz .LBB0_212
; %bb.211:                              ;   in Loop: Header=BB0_15 Depth=1
	ds_write_b32 v204, v253 offset:9856
                                        ; implicit-def: $vgpr1
.LBB0_212:                              ;   in Loop: Header=BB0_15 Depth=1
	s_andn2_saveexec_b64 s[10:11], s[10:11]
	s_cbranch_execz .LBB0_214
; %bb.213:                              ;   in Loop: Header=BB0_15 Depth=1
	v_mad_u64_u32 v[2:3], s[14:15], v1, s57, v[48:49]
	v_ashrrev_i32_e32 v3, 31, v2
	v_lshlrev_b64 v[2:3], 3, v[2:3]
	v_mov_b32_e32 v1, s44
	v_add_co_u32_e32 v2, vcc, s67, v2
	v_addc_co_u32_e32 v3, vcc, v1, v3, vcc
	global_load_dwordx2 v[2:3], v[2:3], off
	s_waitcnt vmcnt(0)
	v_cvt_f16_f32_e32 v1, v2
	v_cvt_f16_f32_e32 v2, v3
	v_pack_b32_f16 v1, v1, v2
	v_pk_mul_f16 v1, v51, v1
	ds_write_b32 v204, v1 offset:9856
.LBB0_214:                              ;   in Loop: Header=BB0_15 Depth=1
	s_or_b64 exec, exec, s[10:11]
	s_waitcnt lgkmcnt(0)
	s_barrier
	ds_read2_b64 v[14:17], v125 offset1:4
	ds_read2_b64 v[10:13], v125 offset0:8 offset1:12
	ds_read2_b64 v[6:9], v125 offset0:16 offset1:20
	;; [unrolled: 1-line block ×5, first 2 shown]
	s_mov_b32 s14, 0
	s_cmp_lt_i32 s80, 2
	v_mov_b32_e32 v28, 0
	s_waitcnt lgkmcnt(0)
	s_barrier
	s_cbranch_scc1 .LBB0_219
; %bb.215:                              ;   in Loop: Header=BB0_15 Depth=1
	v_add_u32_e32 v1, s81, v57
	v_lshl_add_u32 v1, v1, 1, v101
	v_readlane_b32 s10, v255, 4
	v_mul_hi_u32 v28, s10, v1
	v_readlane_b32 s11, v255, 5
	v_add_u32_e32 v28, v1, v28
	v_lshrrev_b32_e32 v28, s11, v28
	v_mul_lo_u32 v28, v28, s36
	v_sub_u32_e32 v1, v1, v28
	v_and_b32_e32 v28, 64, v252
	v_add_u32_e32 v28, 64, v28
	v_xor_b32_e32 v29, 32, v252
	v_cmp_lt_i32_e32 vcc, v29, v28
	v_cndmask_b32_e32 v29, v252, v29, vcc
	v_readlane_b32 s10, v255, 23
	v_lshlrev_b32_e32 v109, 2, v29
	v_xor_b32_e32 v29, 16, v252
	v_readlane_b32 s11, v255, 24
	s_add_i32 s14, s80, -1
	v_cmp_lt_i32_e32 vcc, v29, v28
	v_mad_i64_i32 v[26:27], s[10:11], s10, v1, v[26:27]
	v_cndmask_b32_e32 v28, v252, v29, vcc
	v_add_co_u32_e32 v118, vcc, v250, v26
	s_add_u32 s10, s62, s91
	v_addc_co_u32_e32 v119, vcc, v251, v27, vcc
	s_addc_u32 s11, s45, s92
	v_mov_b32_e32 v1, s11
	v_add_co_u32_e32 v120, vcc, s10, v247
	v_addc_co_u32_e32 v1, vcc, v248, v1, vcc
	v_mov_b32_e32 v26, s11
	v_add_co_u32_e32 v122, vcc, s10, v244
	v_addc_co_u32_e32 v31, vcc, v245, v26, vcc
	v_add_co_u32_e32 v124, vcc, s10, v241
	v_addc_co_u32_e32 v33, vcc, v242, v26, vcc
	v_add_co_u32_e32 v126, vcc, s10, v238
	s_add_u32 s10, s64, s65
	v_addc_co_u32_e32 v35, vcc, v239, v26, vcc
	s_addc_u32 s11, s46, s66
	v_mov_b32_e32 v26, s11
	v_add_co_u32_e32 v128, vcc, s10, v235
	v_addc_co_u32_e32 v37, vcc, v236, v26, vcc
	v_add_co_u32_e32 v130, vcc, s10, v232
	v_addc_co_u32_e32 v41, vcc, v233, v26, vcc
	;; [unrolled: 2-line block ×4, first 2 shown]
	v_add_co_u32_e32 v136, vcc, s10, v223
	v_mov_b32_e32 v113, 0
	v_lshlrev_b32_e32 v111, 2, v28
	v_addc_co_u32_e32 v47, vcc, v224, v26, vcc
	v_mov_b32_e32 v58, 0
	v_mov_b32_e32 v115, 0xfeffffff
	s_mov_b32 s15, s14
	v_mov_b32_e32 v138, 0
	v_mov_b32_e32 v222, 0
	;; [unrolled: 1-line block ×15, first 2 shown]
	s_and_saveexec_b64 s[10:11], s[0:1]
	s_cbranch_execz .LBB0_217
.LBB0_216:                              ;   in Loop: Header=BB0_15 Depth=1
	global_load_dword v52, v[118:119], off
	s_waitcnt vmcnt(0)
	ds_write_b32 v127, v52 offset:17408
.LBB0_217:                              ;   Parent Loop BB0_15 Depth=1
                                        ; =>  This Inner Loop Header: Depth=2
	s_or_b64 exec, exec, s[10:11]
	v_add_co_u32_e32 v140, vcc, v128, v90
	v_addc_co_u32_e32 v141, vcc, v37, v91, vcc
	global_load_dwordx4 v[214:217], v[140:141], off
	v_add_co_u32_e32 v140, vcc, v128, v88
	v_addc_co_u32_e32 v141, vcc, v37, v89, vcc
	v_add_u32_e32 v52, 0x2000, v133
	s_add_i32 s15, s15, -1
	s_cmp_lg_u32 s15, 0
	s_waitcnt vmcnt(0)
	ds_write_b128 v129, v[214:217]
	global_load_dwordx4 v[214:217], v[140:141], off
	v_add_co_u32_e32 v140, vcc, v130, v40
	v_addc_co_u32_e32 v141, vcc, 0, v41, vcc
	s_waitcnt vmcnt(0)
	ds_write_b128 v131, v[214:217]
	s_waitcnt lgkmcnt(0)
	s_barrier
	ds_read2_b64 v[214:217], v133 offset1:4
	s_waitcnt lgkmcnt(0)
	v_mfma_f32_16x16x16f16 a[0:3], v[214:215], v[22:23], 0
	v_mfma_f32_16x16x16f16 a[0:3], v[216:217], v[24:25], a[0:3]
	ds_read2_b64 v[214:217], v133 offset0:8 offset1:12
	s_waitcnt lgkmcnt(0)
	v_mfma_f32_16x16x16f16 a[0:3], v[214:215], v[18:19], a[0:3]
	v_mfma_f32_16x16x16f16 a[0:3], v[216:217], v[20:21], a[0:3]
	ds_read2_b64 v[214:217], v52 offset0:64 offset1:68
	;; [unrolled: 4-line block ×3, first 2 shown]
	s_waitcnt lgkmcnt(0)
	s_barrier
	v_mfma_f32_16x16x16f16 a[4:7], v[214:215], v[18:19], a[4:7]
	v_mfma_f32_16x16x16f16 a[4:7], v[216:217], v[20:21], a[4:7]
	global_load_dwordx4 v[214:217], v[140:141], off
	v_add_co_u32_e32 v140, vcc, v132, v40
	v_addc_co_u32_e32 v141, vcc, 0, v43, vcc
	s_waitcnt vmcnt(0)
	ds_write_b128 v190, v[214:217]
	global_load_dwordx4 v[214:217], v[140:141], off
	v_add_co_u32_e32 v140, vcc, v134, v40
	v_addc_co_u32_e32 v141, vcc, 0, v45, vcc
	s_waitcnt vmcnt(0)
	ds_write_b128 v192, v[214:217]
	global_load_dwordx4 v[214:217], v[140:141], off
	v_add_co_u32_e32 v140, vcc, v136, v40
	v_addc_co_u32_e32 v141, vcc, 0, v47, vcc
	s_waitcnt vmcnt(0)
	ds_write_b128 v194, v[214:217]
	global_load_dwordx4 v[214:217], v[140:141], off
	s_waitcnt vmcnt(0)
	ds_write_b128 v197, v[214:217]
	s_waitcnt lgkmcnt(0)
	s_barrier
	ds_read2_b64 v[214:217], v133 offset1:4
	s_waitcnt lgkmcnt(0)
	v_mfma_f32_16x16x16f16 a[0:3], v[214:215], v[14:15], a[0:3]
	v_mfma_f32_16x16x16f16 a[0:3], v[216:217], v[16:17], a[0:3]
	ds_read2_b64 v[214:217], v133 offset0:8 offset1:12
	s_waitcnt lgkmcnt(0)
	v_mfma_f32_16x16x16f16 a[0:3], v[214:215], v[10:11], a[0:3]
	v_mfma_f32_16x16x16f16 a[0:3], v[216:217], v[12:13], a[0:3]
	ds_read2_b64 v[214:217], v133 offset0:16 offset1:20
	s_waitcnt lgkmcnt(0)
	v_mfma_f32_16x16x16f16 a[0:3], v[214:215], v[6:7], a[0:3]
	v_mfma_f32_16x16x16f16 a[0:3], v[216:217], v[8:9], a[0:3]
	ds_read2_b64 v[214:217], v133 offset0:24 offset1:28
	s_waitcnt lgkmcnt(0)
	v_mfma_f32_16x16x16f16 a[0:3], v[214:215], v[2:3], a[0:3]
	v_mfma_f32_16x16x16f16 a[0:3], v[216:217], v[4:5], a[0:3]
	ds_read2_b64 v[214:217], v52 offset0:64 offset1:68
	s_nop 7
	s_nop 1
	v_accvgpr_read_b32 v141, a3
	v_accvgpr_read_b32 v140, a2
	s_waitcnt lgkmcnt(0)
	v_mfma_f32_16x16x16f16 a[2:5], v[214:215], v[14:15], a[4:7]
	v_accvgpr_read_b32 v219, a1
	v_accvgpr_read_b32 v218, a0
	v_mfma_f32_16x16x16f16 a[2:5], v[216:217], v[16:17], a[2:5]
	ds_read2_b64 v[214:217], v52 offset0:72 offset1:76
	s_waitcnt lgkmcnt(0)
	v_mfma_f32_16x16x16f16 a[2:5], v[214:215], v[10:11], a[2:5]
	v_mfma_f32_16x16x16f16 a[2:5], v[216:217], v[12:13], a[2:5]
	ds_read2_b64 v[214:217], v52 offset0:80 offset1:84
	s_waitcnt lgkmcnt(0)
	v_mfma_f32_16x16x16f16 a[2:5], v[214:215], v[6:7], a[2:5]
	v_mfma_f32_16x16x16f16 a[2:5], v[216:217], v[8:9], a[2:5]
	ds_read2_b64 v[214:217], v52 offset0:88 offset1:92
	v_add_u32_e32 v52, 0x4400, v135
	s_waitcnt lgkmcnt(0)
	s_barrier
	v_mfma_f32_16x16x16f16 a[2:5], v[214:215], v[2:3], a[2:5]
	ds_read2_b32 v[214:215], v52 offset1:1
	ds_read_b32 v52, v198 offset:17408
	ds_read_b32 v53, v199 offset:17408
	v_mfma_f32_16x16x16f16 a[2:5], v[216:217], v[4:5], a[2:5]
	s_waitcnt lgkmcnt(2)
	v_cvt_f32_f16_e32 v216, v214
	v_cvt_f32_f16_sdwa v217, v214 dst_sel:DWORD dst_unused:UNUSED_PAD src0_sel:WORD_1
	v_cvt_f32_f16_e32 v214, v215
	v_cvt_f32_f16_sdwa v215, v215 dst_sel:DWORD dst_unused:UNUSED_PAD src0_sel:WORD_1
	v_pk_add_f32 v[216:217], v[218:219], v[216:217]
	s_waitcnt lgkmcnt(0)
	v_cvt_f32_f16_sdwa v219, v53 dst_sel:DWORD dst_unused:UNUSED_PAD src0_sel:WORD_1
	v_cvt_f32_f16_e32 v218, v53
	v_add_f32_e32 v107, 0x40051340, v216
	v_add_f32_e32 v116, 0x40051340, v217
	v_pk_add_f32 v[140:141], v[140:141], v[214:215]
	v_accvgpr_read_b32 v213, a5
	v_accvgpr_read_b32 v212, a4
	v_pk_add_f32 v[212:213], v[212:213], v[218:219]
	v_cvt_f32_f16_sdwa v219, v52 dst_sel:DWORD dst_unused:UNUSED_PAD src0_sel:WORD_1
	v_cvt_f32_f16_e32 v218, v52
	v_accvgpr_read_b32 v53, a3
	v_accvgpr_read_b32 v52, a2
	v_max3_f32 v107, v115, v107, v116
	v_pk_add_f32 v[52:53], v[52:53], v[218:219]
	v_add_f32_e32 v214, 0x40051340, v140
	v_add_f32_e32 v215, 0x40051340, v141
	;; [unrolled: 1-line block ×4, first 2 shown]
	v_max3_f32 v107, v107, v214, v215
	v_add_f32_e32 v116, 0x40051340, v212
	v_add_f32_e32 v139, 0x40051340, v213
	v_max3_f32 v107, v107, v218, v219
	v_max3_f32 v107, v107, v116, v139
	ds_bpermute_b32 v116, v109, v107
	s_waitcnt lgkmcnt(0)
	v_max_f32_e32 v116, v116, v116
	v_max_f32_e32 v107, v107, v116
	ds_bpermute_b32 v116, v111, v107
	s_waitcnt lgkmcnt(0)
	v_max_f32_e32 v116, v116, v116
	v_max_f32_e32 v116, v107, v116
	v_pk_add_f32 v[214:215], v[216:217], v[116:117] op_sel_hi:[1,0] neg_lo:[0,1] neg_hi:[0,1]
	v_mul_f32_e32 v107, 0x3fb8aa3b, v215
	v_fma_f32 v139, v215, s47, -v107
	v_rndne_f32_e32 v216, v107
	v_fmac_f32_e32 v139, 0x32a5705f, v215
	v_sub_f32_e32 v107, v107, v216
	v_add_f32_e32 v107, v107, v139
	v_exp_f32_e32 v107, v107
	v_cvt_i32_f32_e32 v139, v216
	v_cmp_ngt_f32_e32 vcc, s69, v215
	v_pk_add_f32 v[140:141], v[140:141], v[116:117] op_sel_hi:[1,0] neg_lo:[0,1] neg_hi:[0,1]
	v_pk_add_f32 v[52:53], v[52:53], v[116:117] op_sel_hi:[1,0] neg_lo:[0,1] neg_hi:[0,1]
	v_ldexp_f32 v107, v107, v139
	v_cndmask_b32_e32 v107, 0, v107, vcc
	v_cmp_nlt_f32_e32 vcc, s68, v215
	v_cndmask_b32_e32 v139, v221, v107, vcc
	v_mul_f32_e32 v107, 0x3fb8aa3b, v214
	v_fma_f32 v215, v214, s47, -v107
	v_rndne_f32_e32 v216, v107
	v_fmac_f32_e32 v215, 0x32a5705f, v214
	v_sub_f32_e32 v107, v107, v216
	v_add_f32_e32 v107, v107, v215
	v_exp_f32_e32 v107, v107
	v_cvt_i32_f32_e32 v215, v216
	v_cmp_ngt_f32_e32 vcc, s69, v214
	v_sub_f32_e32 v115, v115, v116
	v_ldexp_f32 v107, v107, v215
	v_cndmask_b32_e32 v107, 0, v107, vcc
	v_cmp_nlt_f32_e32 vcc, s68, v214
	v_cndmask_b32_e32 v214, v221, v107, vcc
	v_mul_f32_e32 v107, 0x3fb8aa3b, v141
	v_fma_f32 v215, v141, s47, -v107
	v_rndne_f32_e32 v216, v107
	v_fmac_f32_e32 v215, 0x32a5705f, v141
	v_sub_f32_e32 v107, v107, v216
	v_add_f32_e32 v107, v107, v215
	v_exp_f32_e32 v107, v107
	v_cvt_i32_f32_e32 v215, v216
	v_cmp_ngt_f32_e32 vcc, s69, v141
	v_ldexp_f32 v107, v107, v215
	v_cndmask_b32_e32 v107, 0, v107, vcc
	v_cmp_nlt_f32_e32 vcc, s68, v141
	v_cndmask_b32_e32 v141, v221, v107, vcc
	v_mul_f32_e32 v107, 0x3fb8aa3b, v140
	v_fma_f32 v215, v140, s47, -v107
	v_rndne_f32_e32 v216, v107
	v_fmac_f32_e32 v215, 0x32a5705f, v140
	v_sub_f32_e32 v107, v107, v216
	v_add_f32_e32 v107, v107, v215
	v_exp_f32_e32 v107, v107
	v_cvt_i32_f32_e32 v215, v216
	v_cmp_ngt_f32_e32 vcc, s69, v140
	;; [unrolled: 13-line block ×3, first 2 shown]
	v_ldexp_f32 v107, v107, v140
	v_cndmask_b32_e32 v107, 0, v107, vcc
	v_cmp_nlt_f32_e32 vcc, s68, v53
	v_mul_f32_e32 v53, 0x3fb8aa3b, v52
	v_cndmask_b32_e32 v216, v221, v107, vcc
	v_fma_f32 v107, v52, s47, -v53
	v_rndne_f32_e32 v140, v53
	v_fmac_f32_e32 v107, 0x32a5705f, v52
	v_sub_f32_e32 v53, v53, v140
	v_add_f32_e32 v53, v53, v107
	v_exp_f32_e32 v53, v53
	v_cvt_i32_f32_e32 v107, v140
	v_cmp_ngt_f32_e32 vcc, s69, v52
	v_ldexp_f32 v53, v53, v107
	v_cndmask_b32_e32 v53, 0, v53, vcc
	v_cmp_nlt_f32_e32 vcc, s68, v52
	v_cndmask_b32_e32 v54, v221, v53, vcc
	v_pk_add_f32 v[52:53], v[212:213], v[116:117] op_sel_hi:[1,0] neg_lo:[0,1] neg_hi:[0,1]
	v_mul_f32_e32 v107, 0x3fb8aa3b, v53
	v_fma_f32 v140, v53, s47, -v107
	v_rndne_f32_e32 v212, v107
	v_fmac_f32_e32 v140, 0x32a5705f, v53
	v_sub_f32_e32 v107, v107, v212
	v_add_f32_e32 v107, v107, v140
	v_exp_f32_e32 v107, v107
	v_cvt_i32_f32_e32 v140, v212
	v_cmp_ngt_f32_e32 vcc, s69, v53
	v_ldexp_f32 v107, v107, v140
	v_cndmask_b32_e32 v107, 0, v107, vcc
	v_cmp_nlt_f32_e32 vcc, s68, v53
	v_cndmask_b32_e32 v53, v221, v107, vcc
	v_mul_f32_e32 v107, 0x3fb8aa3b, v52
	v_fma_f32 v140, v52, s47, -v107
	v_rndne_f32_e32 v212, v107
	v_fmac_f32_e32 v140, 0x32a5705f, v52
	v_sub_f32_e32 v107, v107, v212
	v_add_f32_e32 v107, v107, v140
	v_exp_f32_e32 v107, v107
	v_cvt_i32_f32_e32 v140, v212
	v_cmp_ngt_f32_e32 vcc, s69, v52
	v_ldexp_f32 v107, v107, v140
	v_mul_f32_e32 v140, 0x3fb8aa3b, v115
	v_fma_f32 v212, v115, s47, -v140
	v_rndne_f32_e32 v213, v140
	v_fmac_f32_e32 v212, 0x32a5705f, v115
	v_sub_f32_e32 v140, v140, v213
	v_add_f32_e32 v140, v140, v212
	v_exp_f32_e32 v140, v140
	v_cvt_i32_f32_e32 v212, v213
	v_cndmask_b32_e32 v107, 0, v107, vcc
	v_cmp_nlt_f32_e32 vcc, s68, v52
	v_cndmask_b32_e32 v52, v221, v107, vcc
	v_ldexp_f32 v140, v140, v212
	v_cmp_ngt_f32_e32 vcc, s69, v115
	v_cndmask_b32_e32 v140, 0, v140, vcc
	v_cmp_nlt_f32_e32 vcc, s68, v115
	v_cndmask_b32_e32 v140, v221, v140, vcc
	v_cmp_le_f32_e32 vcc, s7, v115
	v_cndmask_b32_e32 v115, 0, v140, vcc
	v_cvt_f16_f32_e32 v140, v115
	v_add_f32_e32 v107, v214, v139
	v_add_f32_e32 v107, v215, v107
	v_add_f32_e32 v107, v141, v107
	v_add_f32_e32 v107, v54, v107
	v_pk_mul_f16 v219, v140, v26 op_sel_hi:[0,1]
	v_pk_mul_f16 v217, v140, v27 op_sel_hi:[0,1]
	v_cvt_f16_f32_e32 v26, v214
	v_cvt_f16_f32_e32 v27, v139
	v_add_f32_e32 v107, v216, v107
	v_add_f32_e32 v107, v52, v107
	;; [unrolled: 1-line block ×3, first 2 shown]
	v_fmac_f32_e32 v107, v58, v115
	v_pk_mul_f16 v58, v140, v28 op_sel_hi:[0,1]
	v_pk_mul_f16 v218, v140, v29 op_sel_hi:[0,1]
	;; [unrolled: 1-line block ×14, first 2 shown]
	v_pack_b32_f16 v140, v26, v27
	v_cvt_f16_f32_e32 v26, v141
	v_cvt_f16_f32_e32 v27, v215
	v_pack_b32_f16 v141, v27, v26
	v_cvt_f16_f32_e32 v26, v216
	v_cvt_f16_f32_e32 v27, v54
	v_cvt_f32_f16_e32 v216, v217
	v_cvt_f32_f16_sdwa v217, v217 dst_sel:DWORD dst_unused:UNUSED_PAD src0_sel:WORD_1
	v_pack_b32_f16 v138, v27, v26
	v_cvt_f16_f32_e32 v26, v53
	v_cvt_f16_f32_e32 v27, v52
	v_pack_b32_f16 v139, v27, v26
	v_add_co_u32_e32 v26, vcc, v120, v40
	v_addc_co_u32_e32 v27, vcc, 0, v1, vcc
	global_load_dwordx4 v[26:29], v[26:27], off
	v_add_co_u32_e32 v52, vcc, v122, v40
	v_addc_co_u32_e32 v53, vcc, 0, v31, vcc
	v_add_co_u32_e32 v212, vcc, v124, v40
	v_addc_co_u32_e32 v213, vcc, 0, v33, vcc
	;; [unrolled: 2-line block ×4, first 2 shown]
	v_add_co_u32_e32 v120, vcc, s70, v120
	s_waitcnt vmcnt(0)
	ds_write_b128 v191, v[26:29]
	global_load_dwordx4 v[26:29], v[52:53], off
	s_waitcnt vmcnt(0)
	ds_write_b128 v193, v[26:29]
	global_load_dwordx4 v[26:29], v[212:213], off
	;; [unrolled: 3-line block ×3, first 2 shown]
	v_cvt_f32_f16_e32 v214, v218
	v_cvt_f32_f16_sdwa v215, v218 dst_sel:DWORD dst_unused:UNUSED_PAD src0_sel:WORD_1
	s_waitcnt vmcnt(0)
	ds_write_b128 v196, v[26:29]
	s_waitcnt lgkmcnt(0)
	s_barrier
	ds_read_u16 v52, v183 offset:272
	ds_read_u16 v53, v184 offset:272
	v_cvt_f32_f16_e32 v28, v58
	v_cvt_f32_f16_sdwa v29, v58 dst_sel:DWORD dst_unused:UNUSED_PAD src0_sel:WORD_1
	ds_read_u16 v54, v142
	ds_read_u16 v58, v142 offset:32
	v_cvt_f32_f16_e32 v26, v219
	v_cvt_f32_f16_sdwa v27, v219 dst_sel:DWORD dst_unused:UNUSED_PAD src0_sel:WORD_1
	s_waitcnt lgkmcnt(1)
	v_perm_b32 v53, v53, v54, s6
	ds_read_u16 v54, v137
	ds_read_u16 v212, v137 offset:32
	v_accvgpr_write_b32 a0, v26
	v_accvgpr_write_b32 a1, v27
	;; [unrolled: 1-line block ×3, first 2 shown]
	s_waitcnt lgkmcnt(1)
	v_perm_b32 v52, v52, v54, s6
	v_accvgpr_write_b32 a3, v29
	s_nop 1
	v_mfma_f32_16x16x16f16 a[0:3], v[52:53], v[140:141], a[0:3]
	ds_read_u16 v52, v137 offset:8704
	ds_read_u16 v54, v157 offset:272
	;; [unrolled: 1-line block ×4, first 2 shown]
	s_waitcnt lgkmcnt(2)
	v_perm_b32 v52, v54, v52, s6
	s_waitcnt lgkmcnt(0)
	v_perm_b32 v53, v213, v53, s6
	s_nop 2
	v_accvgpr_read_b32 v26, a0
	v_cvt_f16_f32_e32 v26, v26
	v_accvgpr_read_b32 v27, a1
	v_accvgpr_read_b32 v28, a2
	;; [unrolled: 1-line block ×3, first 2 shown]
	v_cvt_f16_f32_e32 v27, v27
	v_cvt_f16_f32_e32 v28, v28
	;; [unrolled: 1-line block ×3, first 2 shown]
	v_cvt_f32_f16_e32 v26, v26
	v_cvt_f32_f16_e32 v27, v27
	;; [unrolled: 1-line block ×4, first 2 shown]
	v_accvgpr_write_b32 a0, v26
	v_accvgpr_write_b32 a1, v27
	;; [unrolled: 1-line block ×4, first 2 shown]
	s_nop 1
	v_mfma_f32_16x16x16f16 a[0:3], v[52:53], v[138:139], a[0:3]
	s_nop 7
	s_nop 2
	v_accvgpr_read_b32 v26, a0
	v_accvgpr_read_b32 v27, a1
	;; [unrolled: 1-line block ×4, first 2 shown]
	v_cvt_f16_f32_e32 v26, v26
	v_cvt_f16_f32_e32 v27, v27
	;; [unrolled: 1-line block ×4, first 2 shown]
	v_accvgpr_write_b32 a0, v214
	v_pack_b32_f16 v26, v26, v27
	v_accvgpr_write_b32 a1, v215
	v_pack_b32_f16 v28, v28, v29
	ds_read_u16 v27, v159 offset:272
	ds_read_u16 v29, v160 offset:272
	v_accvgpr_write_b32 a2, v216
	v_accvgpr_write_b32 a3, v217
	s_waitcnt lgkmcnt(1)
	v_perm_b32 v52, v27, v212, s6
	s_waitcnt lgkmcnt(0)
	v_perm_b32 v53, v29, v58, s6
	ds_read_u16 v54, v143 offset:8704
	ds_read_u16 v58, v161 offset:272
	;; [unrolled: 1-line block ×4, first 2 shown]
	v_mfma_f32_16x16x16f16 a[0:3], v[52:53], v[140:141], a[0:3]
	s_nop 7
	s_nop 2
	v_accvgpr_read_b32 v27, a0
	v_cvt_f16_f32_e32 v27, v27
	v_accvgpr_read_b32 v29, a1
	v_accvgpr_read_b32 v52, a2
	v_accvgpr_read_b32 v53, a3
	v_cvt_f16_f32_e32 v29, v29
	v_cvt_f16_f32_e32 v52, v52
	v_cvt_f16_f32_e32 v53, v53
	v_cvt_f32_f16_e32 v214, v27
	v_cvt_f32_f16_e32 v215, v29
	v_cvt_f32_f16_e32 v216, v52
	v_cvt_f32_f16_e32 v217, v53
	s_waitcnt lgkmcnt(0)
	v_perm_b32 v53, v213, v212, s6
	v_perm_b32 v52, v58, v54, s6
	v_accvgpr_write_b32 a0, v214
	v_accvgpr_write_b32 a1, v215
	v_accvgpr_write_b32 a2, v216
	v_accvgpr_write_b32 a3, v217
	v_cvt_f32_f16_e32 v214, v121
	v_cvt_f32_f16_sdwa v215, v121 dst_sel:DWORD dst_unused:UNUSED_PAD src0_sel:WORD_1
	v_mfma_f32_16x16x16f16 a[0:3], v[52:53], v[138:139], a[0:3]
	v_cvt_f32_f16_e32 v216, v117
	v_cvt_f32_f16_sdwa v217, v117 dst_sel:DWORD dst_unused:UNUSED_PAD src0_sel:WORD_1
	s_nop 7
	s_nop 0
	v_accvgpr_read_b32 v27, a0
	v_accvgpr_read_b32 v29, a1
	v_accvgpr_read_b32 v52, a2
	v_accvgpr_read_b32 v53, a3
	v_cvt_f16_f32_e32 v27, v27
	v_cvt_f16_f32_e32 v29, v29
	v_cvt_f16_f32_e32 v52, v52
	v_cvt_f16_f32_e32 v53, v53
	v_accvgpr_write_b32 a0, v214
	v_pack_b32_f16 v29, v27, v29
	v_accvgpr_write_b32 a1, v215
	v_pack_b32_f16 v27, v52, v53
	ds_read_u16 v52, v137 offset:64
	ds_read_u16 v54, v163 offset:272
	ds_read_u16 v53, v142 offset:64
	ds_read_u16 v58, v164 offset:272
	v_accvgpr_write_b32 a2, v216
	v_accvgpr_write_b32 a3, v217
	s_waitcnt lgkmcnt(2)
	v_perm_b32 v52, v54, v52, s6
	ds_read_u16 v117, v145 offset:8704
	ds_read_u16 v121, v165 offset:272
	ds_read_u16 v212, v146 offset:8704
	ds_read_u16 v213, v166 offset:272
	s_waitcnt lgkmcnt(4)
	v_perm_b32 v53, v58, v53, s6
	s_nop 1
	v_mfma_f32_16x16x16f16 a[0:3], v[52:53], v[140:141], a[0:3]
	s_nop 7
	s_nop 2
	v_accvgpr_read_b32 v52, a0
	v_cvt_f16_f32_e32 v52, v52
	v_accvgpr_read_b32 v53, a1
	v_accvgpr_read_b32 v54, a2
	v_accvgpr_read_b32 v58, a3
	v_cvt_f16_f32_e32 v53, v53
	v_cvt_f16_f32_e32 v54, v54
	v_cvt_f16_f32_e32 v58, v58
	v_cvt_f32_f16_e32 v214, v52
	v_cvt_f32_f16_e32 v215, v53
	v_cvt_f32_f16_e32 v216, v54
	v_cvt_f32_f16_e32 v217, v58
	s_waitcnt lgkmcnt(0)
	v_perm_b32 v53, v213, v212, s6
	v_perm_b32 v52, v121, v117, s6
	v_accvgpr_write_b32 a0, v214
	v_accvgpr_write_b32 a1, v215
	v_accvgpr_write_b32 a2, v216
	v_accvgpr_write_b32 a3, v217
	v_cvt_f32_f16_e32 v214, v231
	v_cvt_f32_f16_sdwa v215, v231 dst_sel:DWORD dst_unused:UNUSED_PAD src0_sel:WORD_1
	v_mfma_f32_16x16x16f16 a[0:3], v[52:53], v[138:139], a[0:3]
	v_cvt_f32_f16_e32 v216, v123
	v_cvt_f32_f16_sdwa v217, v123 dst_sel:DWORD dst_unused:UNUSED_PAD src0_sel:WORD_1
	s_nop 7
	s_nop 0
	v_accvgpr_read_b32 v52, a0
	v_accvgpr_read_b32 v53, a1
	v_accvgpr_read_b32 v54, a2
	v_accvgpr_read_b32 v58, a3
	v_cvt_f16_f32_e32 v52, v52
	v_cvt_f16_f32_e32 v53, v53
	v_cvt_f16_f32_e32 v54, v54
	v_cvt_f16_f32_e32 v58, v58
	v_accvgpr_write_b32 a0, v214
	v_pack_b32_f16 v121, v52, v53
	v_accvgpr_write_b32 a1, v215
	v_pack_b32_f16 v117, v54, v58
	ds_read_u16 v52, v137 offset:96
	ds_read_u16 v54, v167 offset:272
	ds_read_u16 v53, v142 offset:96
	ds_read_u16 v58, v168 offset:272
	v_accvgpr_write_b32 a2, v216
	v_accvgpr_write_b32 a3, v217
	s_waitcnt lgkmcnt(2)
	v_perm_b32 v52, v54, v52, s6
	ds_read_u16 v123, v147 offset:8704
	ds_read_u16 v212, v169 offset:272
	ds_read_u16 v213, v148 offset:8704
	ds_read_u16 v218, v170 offset:272
	s_waitcnt lgkmcnt(4)
	v_perm_b32 v53, v58, v53, s6
	s_nop 1
	;; [unrolled: 56-line block ×5, first 2 shown]
	v_mfma_f32_16x16x16f16 a[0:3], v[52:53], v[140:141], a[0:3]
	s_nop 7
	s_nop 2
	v_accvgpr_read_b32 v52, a0
	v_cvt_f16_f32_e32 v52, v52
	v_accvgpr_read_b32 v53, a1
	v_accvgpr_read_b32 v54, a2
	;; [unrolled: 1-line block ×3, first 2 shown]
	v_cvt_f16_f32_e32 v53, v53
	v_cvt_f16_f32_e32 v54, v54
	;; [unrolled: 1-line block ×3, first 2 shown]
	v_cvt_f32_f16_e32 v214, v52
	v_cvt_f32_f16_e32 v215, v53
	;; [unrolled: 1-line block ×4, first 2 shown]
	s_waitcnt lgkmcnt(0)
	v_perm_b32 v53, v218, v213, s6
	v_perm_b32 v52, v212, v60, s6
	v_accvgpr_write_b32 a0, v214
	v_accvgpr_write_b32 a1, v215
	;; [unrolled: 1-line block ×4, first 2 shown]
	v_cvt_f32_f16_e32 v212, v115
	v_cvt_f32_f16_sdwa v213, v115 dst_sel:DWORD dst_unused:UNUSED_PAD src0_sel:WORD_1
	v_mfma_f32_16x16x16f16 a[0:3], v[52:53], v[138:139], a[0:3]
	v_cvt_f32_f16_e32 v214, v113
	v_cvt_f32_f16_sdwa v215, v113 dst_sel:DWORD dst_unused:UNUSED_PAD src0_sel:WORD_1
	s_nop 7
	s_nop 0
	v_accvgpr_read_b32 v52, a0
	v_accvgpr_read_b32 v53, a1
	;; [unrolled: 1-line block ×4, first 2 shown]
	v_cvt_f16_f32_e32 v52, v52
	v_cvt_f16_f32_e32 v53, v53
	;; [unrolled: 1-line block ×4, first 2 shown]
	v_accvgpr_write_b32 a0, v212
	v_pack_b32_f16 v222, v52, v53
	v_accvgpr_write_b32 a1, v213
	v_pack_b32_f16 v60, v54, v58
	ds_read_u16 v58, v137 offset:224
	ds_read_u16 v217, v185 offset:272
	;; [unrolled: 1-line block ×4, first 2 shown]
	v_accvgpr_write_b32 a2, v214
	v_accvgpr_write_b32 a3, v215
	s_waitcnt lgkmcnt(0)
	v_perm_b32 v53, v53, v52, s6
	v_perm_b32 v52, v217, v58, s6
	s_nop 1
	v_mfma_f32_16x16x16f16 a[0:3], v[52:53], v[140:141], a[0:3]
	ds_read_u16 v113, v155 offset:8704
	ds_read_u16 v115, v187 offset:272
	;; [unrolled: 1-line block ×4, first 2 shown]
	s_waitcnt lgkmcnt(0)
	s_barrier
	s_nop 4
	v_accvgpr_read_b32 v52, a0
	v_cvt_f16_f32_e32 v52, v52
	v_accvgpr_read_b32 v53, a1
	v_accvgpr_read_b32 v54, a2
	;; [unrolled: 1-line block ×3, first 2 shown]
	v_cvt_f16_f32_e32 v53, v53
	v_cvt_f16_f32_e32 v54, v54
	;; [unrolled: 1-line block ×3, first 2 shown]
	v_cvt_f32_f16_e32 v212, v52
	v_cvt_f32_f16_e32 v213, v53
	;; [unrolled: 1-line block ×4, first 2 shown]
	v_perm_b32 v53, v141, v140, s6
	v_perm_b32 v52, v115, v113, s6
	v_accvgpr_write_b32 a0, v212
	v_accvgpr_write_b32 a1, v213
	;; [unrolled: 1-line block ×4, first 2 shown]
	s_nop 1
	v_mfma_f32_16x16x16f16 a[0:3], v[52:53], v[138:139], a[0:3]
	s_nop 7
	s_nop 2
	v_accvgpr_read_b32 v52, a0
	v_accvgpr_read_b32 v53, a1
	v_cvt_f16_f32_e32 v52, v52
	v_cvt_f16_f32_e32 v53, v53
	v_accvgpr_read_b32 v54, a2
	v_accvgpr_read_b32 v58, a3
	v_cvt_f16_f32_e32 v54, v54
	v_pack_b32_f16 v113, v52, v53
	v_mov_b32_e32 v52, s71
	v_addc_co_u32_e32 v1, vcc, v1, v52, vcc
	v_add_co_u32_e32 v122, vcc, s70, v122
	v_addc_co_u32_e32 v31, vcc, v31, v52, vcc
	v_add_co_u32_e32 v124, vcc, s70, v124
	;; [unrolled: 2-line block ×4, first 2 shown]
	v_mov_b32_e32 v52, s73
	v_addc_co_u32_e32 v37, vcc, v37, v52, vcc
	v_add_co_u32_e32 v130, vcc, s72, v130
	v_addc_co_u32_e32 v41, vcc, v41, v52, vcc
	v_add_co_u32_e32 v132, vcc, s72, v132
	v_cvt_f16_f32_e32 v58, v58
	v_addc_co_u32_e32 v43, vcc, v43, v52, vcc
	v_add_co_u32_e32 v134, vcc, s72, v134
	v_addc_co_u32_e32 v45, vcc, v45, v52, vcc
	v_add_co_u32_e32 v136, vcc, s72, v136
	v_pack_b32_f16 v138, v54, v58
	v_addc_co_u32_e32 v47, vcc, v47, v52, vcc
	s_cbranch_scc0 .LBB0_220
; %bb.218:                              ;   in Loop: Header=BB0_217 Depth=2
	v_mov_b32_e32 v58, v107
	v_mov_b32_e32 v115, v116
	s_and_saveexec_b64 s[10:11], s[0:1]
	s_cbranch_execnz .LBB0_216
	s_branch .LBB0_217
.LBB0_219:                              ;   in Loop: Header=BB0_15 Depth=1
	v_mov_b32_e32 v107, 0
	v_mov_b32_e32 v116, 0xfeffffff
	;; [unrolled: 1-line block ×17, first 2 shown]
.LBB0_220:                              ;   in Loop: Header=BB0_15 Depth=1
	s_lshl_b32 s62, s14, 6
	s_and_saveexec_b64 s[10:11], s[0:1]
	s_cbranch_execz .LBB0_222
; %bb.221:                              ;   in Loop: Header=BB0_15 Depth=1
	s_lshl_b64 s[14:15], s[62:63], 1
	v_add_u32_e32 v33, s81, v57
	v_mov_b32_e32 v1, s15
	v_add_co_u32_e32 v31, vcc, s14, v103
	v_lshl_or_b32 v33, v33, 1, v101
	v_readlane_b32 s14, v255, 4
	v_mul_hi_u32 v35, s14, v33
	v_readlane_b32 s15, v255, 5
	v_add_u32_e32 v35, v33, v35
	v_lshrrev_b32_e32 v35, s15, v35
	v_mul_lo_u32 v35, v35, s36
	v_readlane_b32 s14, v255, 21
	v_sub_u32_e32 v33, v33, v35
	v_readlane_b32 s15, v255, 22
	v_mad_i64_i32 v[52:53], s[14:15], v33, s14, 0
	v_addc_co_u32_e32 v1, vcc, v105, v1, vcc
	v_lshlrev_b64 v[52:53], 1, v[52:53]
	v_add_co_u32_e32 v31, vcc, v31, v52
	v_addc_co_u32_e32 v1, vcc, v1, v53, vcc
	v_lshlrev_b32_e32 v33, 1, v34
	v_add_co_u32_e32 v52, vcc, v31, v33
	v_addc_co_u32_e32 v53, vcc, 0, v1, vcc
	global_load_dword v1, v[52:53], off
	s_waitcnt vmcnt(0)
	ds_write_b32 v127, v1 offset:17408
.LBB0_222:                              ;   in Loop: Header=BB0_15 Depth=1
	s_or_b64 exec, exec, s[10:11]
	s_mul_i32 s10, s62, s39
	s_mul_hi_u32 s11, s62, s38
	s_add_i32 s11, s11, s10
	s_mul_i32 s10, s62, s38
	s_lshl_b64 s[10:11], s[10:11], 2
	s_add_u32 s14, s82, s10
	s_addc_u32 s10, s83, s11
	v_add_co_u32_e32 v1, vcc, s14, v90
	v_mov_b32_e32 v31, s10
	v_addc_co_u32_e32 v31, vcc, v31, v91, vcc
	v_lshlrev_b32_e32 v33, 2, v36
	v_add_co_u32_e32 v52, vcc, v1, v33
	v_addc_co_u32_e32 v53, vcc, 0, v31, vcc
	global_load_dwordx4 v[212:215], v[52:53], off offset:256
	v_add_co_u32_e32 v1, vcc, s14, v88
	v_mov_b32_e32 v31, s10
	v_addc_co_u32_e32 v31, vcc, v31, v89, vcc
	v_add_co_u32_e32 v52, vcc, v1, v33
	v_addc_co_u32_e32 v53, vcc, 0, v31, vcc
	v_add_u32_e32 v1, 0x2000, v133
	s_mul_hi_u32 s11, s62, s34
	s_waitcnt vmcnt(0)
	ds_write_b128 v129, v[212:215]
	global_load_dwordx4 v[212:215], v[52:53], off offset:256
	s_waitcnt vmcnt(0)
	ds_write_b128 v131, v[212:215]
	s_waitcnt lgkmcnt(0)
	s_barrier
	ds_read2_b64 v[212:215], v133 offset1:4
	s_waitcnt lgkmcnt(0)
	v_mfma_f32_16x16x16f16 a[0:3], v[212:213], v[22:23], 0
	v_mfma_f32_16x16x16f16 a[0:3], v[214:215], v[24:25], a[0:3]
	ds_read2_b64 v[212:215], v133 offset0:8 offset1:12
	s_waitcnt lgkmcnt(0)
	v_mfma_f32_16x16x16f16 a[0:3], v[212:213], v[18:19], a[0:3]
	v_mfma_f32_16x16x16f16 a[4:7], v[214:215], v[20:21], a[0:3]
	ds_read2_b64 v[212:215], v1 offset0:64 offset1:68
	;; [unrolled: 4-line block ×3, first 2 shown]
	s_waitcnt lgkmcnt(0)
	s_barrier
	v_mfma_f32_16x16x16f16 a[0:3], v[22:23], v[18:19], a[0:3]
	v_add_co_u32_e32 v18, vcc, s14, v92
	v_mov_b32_e32 v19, s10
	v_addc_co_u32_e32 v19, vcc, v19, v93, vcc
	v_lshlrev_b32_e32 v22, 2, v100
	v_add_co_u32_e32 v18, vcc, v18, v22
	v_addc_co_u32_e32 v19, vcc, 0, v19, vcc
	v_mfma_f32_16x16x16f16 a[0:3], v[24:25], v[20:21], a[0:3]
	global_load_dwordx4 v[18:21], v[18:19], off
	s_waitcnt vmcnt(0)
	ds_write_b128 v190, v[18:21]
	v_add_co_u32_e32 v18, vcc, s14, v94
	v_mov_b32_e32 v19, s10
	v_addc_co_u32_e32 v19, vcc, v19, v95, vcc
	v_add_co_u32_e32 v18, vcc, v18, v22
	v_addc_co_u32_e32 v19, vcc, 0, v19, vcc
	global_load_dwordx4 v[18:21], v[18:19], off
	s_waitcnt vmcnt(0)
	ds_write_b128 v192, v[18:21]
	v_add_co_u32_e32 v18, vcc, s14, v96
	v_mov_b32_e32 v19, s10
	v_addc_co_u32_e32 v19, vcc, v19, v97, vcc
	v_add_co_u32_e32 v18, vcc, v18, v22
	v_addc_co_u32_e32 v19, vcc, 0, v19, vcc
	;; [unrolled: 8-line block ×3, first 2 shown]
	global_load_dwordx4 v[18:21], v[18:19], off
	s_mul_i32 s10, s62, s35
	s_add_i32 s11, s11, s10
	s_mul_i32 s10, s62, s34
	s_lshl_b64 s[10:11], s[10:11], 2
	s_add_u32 s10, s8, s10
	s_addc_u32 s8, s9, s11
	s_cmp_eq_u64 s[74:75], 0
	s_waitcnt vmcnt(0)
	ds_write_b128 v197, v[18:21]
	s_waitcnt lgkmcnt(0)
	s_barrier
	ds_read2_b64 v[18:21], v133 offset1:4
	s_waitcnt lgkmcnt(0)
	v_mfma_f32_16x16x16f16 a[4:7], v[18:19], v[14:15], a[4:7]
	v_mfma_f32_16x16x16f16 a[4:7], v[20:21], v[16:17], a[4:7]
	ds_read2_b64 v[18:21], v133 offset0:8 offset1:12
	s_waitcnt lgkmcnt(0)
	v_mfma_f32_16x16x16f16 a[4:7], v[18:19], v[10:11], a[4:7]
	v_mfma_f32_16x16x16f16 a[4:7], v[20:21], v[12:13], a[4:7]
	ds_read2_b64 v[18:21], v133 offset0:16 offset1:20
	;; [unrolled: 4-line block ×4, first 2 shown]
	s_waitcnt lgkmcnt(0)
	v_mfma_f32_16x16x16f16 a[0:3], v[18:19], v[14:15], a[0:3]
	s_nop 7
	v_accvgpr_read_b32 v23, a7
	v_accvgpr_read_b32 v22, a6
	v_mfma_f32_16x16x16f16 a[0:3], v[20:21], v[16:17], a[0:3]
	ds_read2_b64 v[14:17], v1 offset0:72 offset1:76
	s_waitcnt lgkmcnt(0)
	v_mfma_f32_16x16x16f16 a[0:3], v[14:15], v[10:11], a[0:3]
	v_mfma_f32_16x16x16f16 a[0:3], v[16:17], v[12:13], a[0:3]
	ds_read2_b64 v[10:13], v1 offset0:80 offset1:84
	s_waitcnt lgkmcnt(0)
	v_mfma_f32_16x16x16f16 a[0:3], v[10:11], v[6:7], a[0:3]
	v_accvgpr_read_b32 v11, a5
	v_accvgpr_read_b32 v10, a4
	v_mfma_f32_16x16x16f16 a[0:3], v[12:13], v[8:9], a[0:3]
	ds_read2_b64 v[6:9], v1 offset0:88 offset1:92
	v_add_u32_e32 v1, 0x4400, v135
	s_waitcnt lgkmcnt(0)
	s_barrier
	v_mfma_f32_16x16x16f16 a[0:3], v[6:7], v[2:3], a[0:3]
	v_and_b32_e32 v3, 64, v252
	ds_read2_b32 v[6:7], v1 offset1:1
	ds_read_b32 v1, v198 offset:17408
	ds_read_b32 v2, v199 offset:17408
	v_mfma_f32_16x16x16f16 a[0:3], v[8:9], v[4:5], a[0:3]
	v_add_u32_e32 v8, 64, v3
	v_xor_b32_e32 v3, 32, v252
	v_cmp_lt_i32_e32 vcc, v3, v8
	v_xor_b32_e32 v9, 16, v252
	v_cndmask_b32_e32 v3, v252, v3, vcc
	v_cmp_lt_i32_e32 vcc, v9, v8
	v_cndmask_b32_e32 v8, v252, v9, vcc
	v_lshlrev_b32_e32 v21, 2, v8
	s_waitcnt lgkmcnt(2)
	v_cvt_f32_f16_e32 v8, v6
	v_cvt_f32_f16_sdwa v9, v6 dst_sel:DWORD dst_unused:UNUSED_PAD src0_sel:WORD_1
	v_lshlrev_b32_e32 v3, 2, v3
	v_accvgpr_read_b32 v5, a3
	v_accvgpr_read_b32 v4, a2
	v_pk_add_f32 v[8:9], v[10:11], v[8:9]
	v_add_f32_e32 v6, 0x40051340, v8
	v_add_f32_e32 v10, 0x40051340, v9
	v_max3_f32 v14, v116, v6, v10
	s_waitcnt lgkmcnt(0)
	v_cvt_f32_f16_sdwa v11, v2 dst_sel:DWORD dst_unused:UNUSED_PAD src0_sel:WORD_1
	v_cvt_f32_f16_e32 v10, v2
	v_cvt_f32_f16_e32 v6, v7
	v_cvt_f32_f16_sdwa v7, v7 dst_sel:DWORD dst_unused:UNUSED_PAD src0_sel:WORD_1
	v_accvgpr_read_b32 v13, a1
	v_pk_add_f32 v[4:5], v[4:5], v[10:11]
	v_cvt_f32_f16_sdwa v11, v1 dst_sel:DWORD dst_unused:UNUSED_PAD src0_sel:WORD_1
	v_cvt_f32_f16_e32 v10, v1
	v_accvgpr_read_b32 v12, a0
	v_pk_add_f32 v[6:7], v[22:23], v[6:7]
	v_add_f32_e32 v16, 0x40051340, v7
	v_pk_add_f32 v[10:11], v[12:13], v[10:11]
	v_add_f32_e32 v13, 0x40051340, v6
	v_add_f32_e32 v1, 0x40051340, v10
	;; [unrolled: 1-line block ×3, first 2 shown]
	v_max3_f32 v13, v14, v13, v16
	v_add_f32_e32 v2, 0x40051340, v4
	v_add_f32_e32 v15, 0x40051340, v5
	v_max3_f32 v1, v13, v1, v12
	v_max3_f32 v1, v1, v2, v15
	ds_bpermute_b32 v2, v3, v1
	s_waitcnt lgkmcnt(0)
	v_max_f32_e32 v2, v2, v2
	v_max_f32_e32 v1, v1, v2
	ds_bpermute_b32 v2, v21, v1
	s_waitcnt lgkmcnt(0)
	v_max_f32_e32 v2, v2, v2
	v_max_f32_e32 v2, v1, v2
	v_pk_add_f32 v[8:9], v[8:9], v[2:3] op_sel_hi:[1,0] neg_lo:[0,1] neg_hi:[0,1]
	v_mul_f32_e32 v1, 0x3fb8aa3b, v9
	v_fma_f32 v12, v9, s47, -v1
	v_rndne_f32_e32 v13, v1
	v_fmac_f32_e32 v12, 0x32a5705f, v9
	v_sub_f32_e32 v1, v1, v13
	v_add_f32_e32 v1, v1, v12
	v_exp_f32_e32 v1, v1
	v_cvt_i32_f32_e32 v12, v13
	v_cmp_ngt_f32_e32 vcc, s69, v9
	v_pk_add_f32 v[6:7], v[6:7], v[2:3] op_sel_hi:[1,0] neg_lo:[0,1] neg_hi:[0,1]
	v_pk_add_f32 v[4:5], v[4:5], v[2:3] op_sel_hi:[1,0] neg_lo:[0,1] neg_hi:[0,1]
	v_ldexp_f32 v1, v1, v12
	v_cndmask_b32_e32 v1, 0, v1, vcc
	v_cmp_nlt_f32_e32 vcc, s68, v9
	v_cndmask_b32_e32 v9, v221, v1, vcc
	v_mul_f32_e32 v1, 0x3fb8aa3b, v8
	v_fma_f32 v12, v8, s47, -v1
	v_rndne_f32_e32 v13, v1
	v_fmac_f32_e32 v12, 0x32a5705f, v8
	v_sub_f32_e32 v1, v1, v13
	v_add_f32_e32 v1, v1, v12
	v_exp_f32_e32 v1, v1
	v_cvt_i32_f32_e32 v12, v13
	v_cmp_ngt_f32_e32 vcc, s69, v8
	v_ldexp_f32 v1, v1, v12
	v_cndmask_b32_e32 v1, 0, v1, vcc
	v_cmp_nlt_f32_e32 vcc, s68, v8
	v_cndmask_b32_e32 v8, v221, v1, vcc
	v_mul_f32_e32 v1, 0x3fb8aa3b, v7
	v_fma_f32 v12, v7, s47, -v1
	v_rndne_f32_e32 v13, v1
	v_fmac_f32_e32 v12, 0x32a5705f, v7
	v_sub_f32_e32 v1, v1, v13
	v_add_f32_e32 v1, v1, v12
	v_exp_f32_e32 v1, v1
	v_cvt_i32_f32_e32 v12, v13
	v_cmp_ngt_f32_e32 vcc, s69, v7
	;; [unrolled: 13-line block ×3, first 2 shown]
	v_ldexp_f32 v1, v1, v7
	v_cndmask_b32_e32 v1, 0, v1, vcc
	v_cmp_nlt_f32_e32 vcc, s68, v6
	v_pk_add_f32 v[6:7], v[10:11], v[2:3] op_sel_hi:[1,0] neg_lo:[0,1] neg_hi:[0,1]
	v_cndmask_b32_e32 v33, v221, v1, vcc
	v_mul_f32_e32 v1, 0x3fb8aa3b, v7
	v_fma_f32 v10, v7, s47, -v1
	v_rndne_f32_e32 v11, v1
	v_fmac_f32_e32 v10, 0x32a5705f, v7
	v_sub_f32_e32 v1, v1, v11
	v_add_f32_e32 v1, v1, v10
	v_exp_f32_e32 v1, v1
	v_cvt_i32_f32_e32 v10, v11
	v_cmp_ngt_f32_e32 vcc, s69, v7
	v_ldexp_f32 v1, v1, v10
	v_cndmask_b32_e32 v1, 0, v1, vcc
	v_cmp_nlt_f32_e32 vcc, s68, v7
	v_cndmask_b32_e32 v35, v221, v1, vcc
	v_mul_f32_e32 v1, 0x3fb8aa3b, v6
	v_fma_f32 v7, v6, s47, -v1
	v_rndne_f32_e32 v10, v1
	v_fmac_f32_e32 v7, 0x32a5705f, v6
	v_sub_f32_e32 v1, v1, v10
	v_add_f32_e32 v1, v1, v7
	v_exp_f32_e32 v1, v1
	v_cvt_i32_f32_e32 v7, v10
	v_cmp_ngt_f32_e32 vcc, s69, v6
	v_ldexp_f32 v1, v1, v7
	v_cndmask_b32_e32 v1, 0, v1, vcc
	v_cmp_nlt_f32_e32 vcc, s68, v6
	;; [unrolled: 13-line block ×4, first 2 shown]
	v_cndmask_b32_e32 v41, v221, v1, vcc
	v_add_f32_e32 v1, v8, v9
	v_add_f32_e32 v1, v33, v1
	;; [unrolled: 1-line block ×7, first 2 shown]
	v_sub_f32_e32 v1, v116, v2
	v_mul_f32_e32 v4, 0x3fb8aa3b, v1
	v_fma_f32 v6, v1, s47, -v4
	v_rndne_f32_e32 v7, v4
	v_fmac_f32_e32 v6, 0x32a5705f, v1
	v_sub_f32_e32 v4, v4, v7
	v_add_f32_e32 v4, v4, v6
	v_exp_f32_e32 v4, v4
	v_cvt_i32_f32_e32 v6, v7
	v_cmp_ngt_f32_e32 vcc, s69, v1
	v_cvt_f16_f32_e32 v7, v33
	v_cvt_f16_f32_e32 v5, v5
	v_ldexp_f32 v4, v4, v6
	v_cndmask_b32_e32 v4, 0, v4, vcc
	v_cmp_nlt_f32_e32 vcc, s68, v1
	v_cndmask_b32_e32 v4, v221, v4, vcc
	v_cmp_le_f32_e32 vcc, s7, v1
	v_cndmask_b32_e32 v1, 0, v4, vcc
	v_cvt_f16_f32_e32 v4, v1
	v_fmac_f32_e32 v22, v107, v1
	v_cvt_f16_f32_e32 v6, v9
	v_mov_b32_e32 v9, s8
	v_pk_mul_f16 v26, v4, v26 op_sel_hi:[0,1]
	v_pk_mul_f16 v1, v4, v28 op_sel_hi:[0,1]
	;; [unrolled: 1-line block ×16, first 2 shown]
	v_cvt_f16_f32_e32 v4, v8
	v_cvt_f16_f32_e32 v8, v37
	v_lshlrev_b32_e32 v27, 2, v42
	v_mov_b32_e32 v29, s8
	v_pack_b32_f16 v6, v4, v6
	v_cvt_f16_f32_e32 v4, v31
	v_mov_b32_e32 v33, s8
	ds_bpermute_b32 v3, v3, v22
	v_pack_b32_f16 v7, v7, v4
	v_cvt_f16_f32_e32 v4, v35
	s_waitcnt lgkmcnt(0)
	v_add_f32_e32 v3, v22, v3
	v_pack_b32_f16 v4, v8, v4
	v_cvt_f16_f32_e32 v8, v41
	v_pack_b32_f16 v5, v8, v5
	v_add_co_u32_e32 v8, vcc, s10, v80
	v_addc_co_u32_e32 v9, vcc, v9, v81, vcc
	v_add_co_u32_e32 v8, vcc, v8, v27
	v_addc_co_u32_e32 v9, vcc, 0, v9, vcc
	global_load_dwordx4 v[116:119], v[8:9], off
	v_add_co_u32_e32 v28, vcc, s10, v82
	v_addc_co_u32_e32 v29, vcc, v29, v83, vcc
	v_add_co_u32_e32 v28, vcc, v28, v27
	v_addc_co_u32_e32 v29, vcc, 0, v29, vcc
	;; [unrolled: 2-line block ×4, first 2 shown]
	v_add_co_u32_e32 v31, vcc, s10, v86
	v_mov_b32_e32 v33, s8
	v_addc_co_u32_e32 v33, vcc, v33, v87, vcc
	v_add_co_u32_e32 v120, vcc, v31, v27
	v_addc_co_u32_e32 v121, vcc, 0, v33, vcc
	s_cselect_b64 s[8:9], -1, 0
	s_xor_b64 s[10:11], s[2:3], -1
	s_or_b64 s[8:9], s[10:11], s[8:9]
	s_waitcnt vmcnt(0)
	ds_write_b128 v191, v[116:119]
	global_load_dwordx4 v[116:119], v[28:29], off
	s_waitcnt vmcnt(0)
	ds_write_b128 v193, v[116:119]
	global_load_dwordx4 v[116:119], v[52:53], off
	;; [unrolled: 3-line block ×3, first 2 shown]
	s_waitcnt vmcnt(0)
	ds_write_b128 v196, v[116:119]
	s_waitcnt lgkmcnt(0)
	s_barrier
	ds_read_u16 v8, v183 offset:272
	ds_read_u16 v9, v184 offset:272
	v_cvt_f32_f16_e32 v118, v1
	v_cvt_f32_f16_sdwa v119, v1 dst_sel:DWORD dst_unused:UNUSED_PAD src0_sel:WORD_1
	ds_read_u16 v1, v142
	ds_read_u16 v31, v142 offset:32
	v_cvt_f32_f16_e32 v116, v26
	v_cvt_f32_f16_sdwa v117, v26 dst_sel:DWORD dst_unused:UNUSED_PAD src0_sel:WORD_1
	s_waitcnt lgkmcnt(1)
	v_perm_b32 v9, v9, v1, s6
	ds_read_u16 v1, v137
	ds_read_u16 v33, v137 offset:32
	v_accvgpr_write_b32 a0, v116
	v_accvgpr_write_b32 a1, v117
	;; [unrolled: 1-line block ×3, first 2 shown]
	s_waitcnt lgkmcnt(1)
	v_perm_b32 v8, v8, v1, s6
	v_accvgpr_write_b32 a3, v119
	ds_read_u16 v35, v137 offset:8704
	ds_read_u16 v37, v157 offset:272
	;; [unrolled: 1-line block ×4, first 2 shown]
	v_mfma_f32_16x16x16f16 a[0:3], v[8:9], v[6:7], a[0:3]
	v_cvt_f32_f16_e32 v116, v24
	v_cvt_f32_f16_sdwa v117, v24 dst_sel:DWORD dst_unused:UNUSED_PAD src0_sel:WORD_1
	v_cvt_f32_f16_e32 v118, v23
	v_cvt_f32_f16_sdwa v119, v23 dst_sel:DWORD dst_unused:UNUSED_PAD src0_sel:WORD_1
	s_nop 6
	v_accvgpr_read_b32 v1, a0
	v_cvt_f16_f32_e32 v1, v1
	v_accvgpr_read_b32 v8, a1
	v_accvgpr_read_b32 v9, a2
	;; [unrolled: 1-line block ×3, first 2 shown]
	v_cvt_f16_f32_e32 v8, v8
	v_cvt_f16_f32_e32 v9, v9
	;; [unrolled: 1-line block ×3, first 2 shown]
	v_cvt_f32_f16_e32 v26, v1
	v_cvt_f32_f16_e32 v27, v8
	;; [unrolled: 1-line block ×4, first 2 shown]
	s_waitcnt lgkmcnt(0)
	v_perm_b32 v9, v43, v41, s6
	v_perm_b32 v8, v37, v35, s6
	v_accvgpr_write_b32 a0, v26
	v_accvgpr_write_b32 a1, v27
	;; [unrolled: 1-line block ×4, first 2 shown]
	v_cvt_f32_f16_sdwa v27, v25 dst_sel:DWORD dst_unused:UNUSED_PAD src0_sel:WORD_1
	v_cvt_f32_f16_e32 v28, v10
	v_mfma_f32_16x16x16f16 a[0:3], v[8:9], v[4:5], a[0:3]
	v_cvt_f32_f16_sdwa v29, v10 dst_sel:DWORD dst_unused:UNUSED_PAD src0_sel:WORD_1
	s_nop 7
	s_nop 1
	v_accvgpr_read_b32 v1, a0
	v_accvgpr_read_b32 v8, a1
	;; [unrolled: 1-line block ×4, first 2 shown]
	v_cvt_f16_f32_e32 v1, v1
	v_cvt_f16_f32_e32 v8, v8
	;; [unrolled: 1-line block ×4, first 2 shown]
	v_pack_b32_f16 v8, v1, v8
	v_pack_b32_f16 v1, v9, v26
	ds_read_u16 v9, v159 offset:272
	ds_read_u16 v35, v160 offset:272
	v_cvt_f32_f16_e32 v26, v25
	s_waitcnt lgkmcnt(1)
	v_perm_b32 v52, v9, v33, s6
	s_waitcnt lgkmcnt(0)
	v_perm_b32 v53, v35, v31, s6
	v_accvgpr_write_b32 a0, v26
	v_accvgpr_write_b32 a1, v27
	v_accvgpr_write_b32 a2, v28
	v_accvgpr_write_b32 a3, v29
	ds_read_u16 v31, v143 offset:8704
	ds_read_u16 v33, v161 offset:272
	ds_read_u16 v35, v144 offset:8704
	ds_read_u16 v37, v162 offset:272
	v_mfma_f32_16x16x16f16 a[0:3], v[52:53], v[6:7], a[0:3]
	s_waitcnt lgkmcnt(2)
	v_perm_b32 v52, v33, v31, s6
	s_waitcnt lgkmcnt(0)
	v_perm_b32 v53, v37, v35, s6
	s_nop 6
	v_accvgpr_read_b32 v9, a0
	v_cvt_f16_f32_e32 v9, v9
	v_accvgpr_read_b32 v10, a1
	v_accvgpr_read_b32 v25, a2
	v_accvgpr_read_b32 v26, a3
	v_cvt_f16_f32_e32 v10, v10
	v_cvt_f16_f32_e32 v25, v25
	v_cvt_f16_f32_e32 v29, v26
	v_cvt_f32_f16_e32 v26, v9
	v_cvt_f32_f16_e32 v27, v10
	v_cvt_f32_f16_e32 v28, v25
	v_cvt_f32_f16_e32 v29, v29
	v_accvgpr_write_b32 a0, v26
	v_accvgpr_write_b32 a1, v27
	v_accvgpr_write_b32 a2, v28
	v_accvgpr_write_b32 a3, v29
	v_cvt_f32_f16_sdwa v27, v12 dst_sel:DWORD dst_unused:UNUSED_PAD src0_sel:WORD_1
	v_cvt_f32_f16_e32 v28, v11
	v_mfma_f32_16x16x16f16 a[0:3], v[52:53], v[4:5], a[0:3]
	v_cvt_f32_f16_sdwa v29, v11 dst_sel:DWORD dst_unused:UNUSED_PAD src0_sel:WORD_1
	s_nop 7
	s_nop 1
	v_accvgpr_read_b32 v9, a0
	v_accvgpr_read_b32 v10, a1
	v_accvgpr_read_b32 v25, a2
	v_accvgpr_read_b32 v26, a3
	v_cvt_f16_f32_e32 v9, v9
	v_cvt_f16_f32_e32 v10, v10
	v_cvt_f16_f32_e32 v25, v25
	v_cvt_f16_f32_e32 v26, v26
	v_pack_b32_f16 v10, v9, v10
	v_pack_b32_f16 v9, v25, v26
	ds_read_u16 v25, v137 offset:64
	ds_read_u16 v31, v163 offset:272
	ds_read_u16 v33, v142 offset:64
	ds_read_u16 v35, v164 offset:272
	v_cvt_f32_f16_e32 v26, v12
	s_waitcnt lgkmcnt(2)
	v_perm_b32 v52, v31, v25, s6
	s_waitcnt lgkmcnt(0)
	v_perm_b32 v53, v35, v33, s6
	v_accvgpr_write_b32 a0, v26
	v_accvgpr_write_b32 a1, v27
	v_accvgpr_write_b32 a2, v28
	v_accvgpr_write_b32 a3, v29
	ds_read_u16 v31, v145 offset:8704
	ds_read_u16 v33, v165 offset:272
	ds_read_u16 v35, v146 offset:8704
	ds_read_u16 v37, v166 offset:272
	v_mfma_f32_16x16x16f16 a[0:3], v[52:53], v[6:7], a[0:3]
	s_waitcnt lgkmcnt(2)
	v_perm_b32 v52, v33, v31, s6
	s_waitcnt lgkmcnt(0)
	v_perm_b32 v53, v37, v35, s6
	s_nop 6
	v_accvgpr_read_b32 v11, a0
	v_cvt_f16_f32_e32 v11, v11
	v_accvgpr_read_b32 v12, a1
	v_accvgpr_read_b32 v25, a2
	v_accvgpr_read_b32 v26, a3
	v_cvt_f16_f32_e32 v12, v12
	v_cvt_f16_f32_e32 v25, v25
	v_cvt_f16_f32_e32 v29, v26
	v_cvt_f32_f16_e32 v26, v11
	v_cvt_f32_f16_e32 v27, v12
	v_cvt_f32_f16_e32 v28, v25
	v_cvt_f32_f16_e32 v29, v29
	v_accvgpr_write_b32 a0, v26
	v_accvgpr_write_b32 a1, v27
	v_accvgpr_write_b32 a2, v28
	v_accvgpr_write_b32 a3, v29
	v_cvt_f32_f16_sdwa v27, v14 dst_sel:DWORD dst_unused:UNUSED_PAD src0_sel:WORD_1
	v_cvt_f32_f16_e32 v28, v13
	v_mfma_f32_16x16x16f16 a[0:3], v[52:53], v[4:5], a[0:3]
	v_cvt_f32_f16_sdwa v29, v13 dst_sel:DWORD dst_unused:UNUSED_PAD src0_sel:WORD_1
	s_nop 7
	s_nop 1
	v_accvgpr_read_b32 v11, a0
	v_accvgpr_read_b32 v12, a1
	v_accvgpr_read_b32 v25, a2
	v_accvgpr_read_b32 v26, a3
	v_cvt_f16_f32_e32 v11, v11
	v_cvt_f16_f32_e32 v12, v12
	v_cvt_f16_f32_e32 v25, v25
	v_cvt_f16_f32_e32 v26, v26
	v_pack_b32_f16 v12, v11, v12
	v_pack_b32_f16 v11, v25, v26
	ds_read_u16 v25, v137 offset:96
	ds_read_u16 v31, v167 offset:272
	;; [unrolled: 55-line block ×5, first 2 shown]
	ds_read_u16 v33, v142 offset:192
	ds_read_u16 v35, v180 offset:272
	v_cvt_f32_f16_e32 v26, v20
	s_waitcnt lgkmcnt(2)
	v_perm_b32 v52, v31, v25, s6
	s_waitcnt lgkmcnt(0)
	v_perm_b32 v53, v35, v33, s6
	v_accvgpr_write_b32 a0, v26
	v_accvgpr_write_b32 a1, v27
	;; [unrolled: 1-line block ×4, first 2 shown]
	ds_read_u16 v31, v153 offset:8704
	ds_read_u16 v33, v181 offset:272
	;; [unrolled: 1-line block ×4, first 2 shown]
	v_mfma_f32_16x16x16f16 a[0:3], v[52:53], v[6:7], a[0:3]
	s_waitcnt lgkmcnt(2)
	v_perm_b32 v52, v33, v31, s6
	s_waitcnt lgkmcnt(0)
	v_perm_b32 v53, v37, v35, s6
	s_nop 6
	v_accvgpr_read_b32 v19, a0
	v_cvt_f16_f32_e32 v19, v19
	v_accvgpr_read_b32 v20, a1
	v_accvgpr_read_b32 v25, a2
	;; [unrolled: 1-line block ×3, first 2 shown]
	v_cvt_f16_f32_e32 v20, v20
	v_cvt_f16_f32_e32 v25, v25
	;; [unrolled: 1-line block ×3, first 2 shown]
	v_cvt_f32_f16_e32 v26, v19
	v_cvt_f32_f16_e32 v27, v20
	;; [unrolled: 1-line block ×4, first 2 shown]
	v_accvgpr_write_b32 a0, v26
	v_accvgpr_write_b32 a1, v27
	;; [unrolled: 1-line block ×4, first 2 shown]
	s_nop 1
	v_mfma_f32_16x16x16f16 a[0:3], v[52:53], v[4:5], a[0:3]
	s_nop 7
	s_nop 2
	v_accvgpr_read_b32 v19, a0
	v_accvgpr_read_b32 v20, a1
	;; [unrolled: 1-line block ×4, first 2 shown]
	v_cvt_f16_f32_e32 v19, v19
	v_cvt_f16_f32_e32 v20, v20
	;; [unrolled: 1-line block ×4, first 2 shown]
	v_accvgpr_write_b32 a0, v116
	v_pack_b32_f16 v20, v19, v20
	v_accvgpr_write_b32 a1, v117
	v_pack_b32_f16 v19, v25, v26
	ds_read_u16 v25, v137 offset:224
	ds_read_u16 v26, v185 offset:272
	;; [unrolled: 1-line block ×4, first 2 shown]
	v_accvgpr_write_b32 a2, v118
	v_accvgpr_write_b32 a3, v119
	s_waitcnt lgkmcnt(2)
	v_perm_b32 v26, v26, v25, s6
	s_waitcnt lgkmcnt(0)
	v_perm_b32 v27, v28, v27, s6
	ds_read_u16 v28, v155 offset:8704
	ds_read_u16 v29, v187 offset:272
	;; [unrolled: 1-line block ×4, first 2 shown]
	v_mfma_f32_16x16x16f16 a[0:3], v[26:27], v[6:7], a[0:3]
	s_waitcnt lgkmcnt(0)
	s_barrier
	s_nop 7
	s_nop 0
	v_accvgpr_read_b32 v6, a0
	v_cvt_f16_f32_e32 v6, v6
	v_accvgpr_read_b32 v7, a1
	v_accvgpr_read_b32 v23, a2
	;; [unrolled: 1-line block ×3, first 2 shown]
	v_cvt_f16_f32_e32 v7, v7
	v_cvt_f16_f32_e32 v23, v23
	;; [unrolled: 1-line block ×3, first 2 shown]
	v_cvt_f32_f16_e32 v24, v6
	v_cvt_f32_f16_e32 v25, v7
	v_cvt_f32_f16_e32 v26, v23
	v_cvt_f32_f16_e32 v27, v27
	v_perm_b32 v7, v33, v31, s6
	v_perm_b32 v6, v29, v28, s6
	v_accvgpr_write_b32 a0, v24
	v_accvgpr_write_b32 a1, v25
	;; [unrolled: 1-line block ×4, first 2 shown]
	s_nop 1
	v_mfma_f32_16x16x16f16 a[0:3], v[6:7], v[4:5], a[0:3]
	s_nop 7
	s_nop 2
	v_accvgpr_read_b32 v4, a0
	v_accvgpr_read_b32 v5, a1
	;; [unrolled: 1-line block ×4, first 2 shown]
	v_cvt_f16_f32_e32 v4, v4
	v_cvt_f16_f32_e32 v5, v5
	;; [unrolled: 1-line block ×4, first 2 shown]
	v_pack_b32_f16 v4, v4, v5
	v_pack_b32_f16 v5, v6, v7
	ds_bpermute_b32 v6, v21, v3
	s_waitcnt lgkmcnt(0)
	v_add_f32_e32 v3, v3, v6
	s_and_saveexec_b64 s[10:11], s[8:9]
	s_xor_b64 s[10:11], exec, s[10:11]
	s_andn2_saveexec_b64 s[10:11], s[10:11]
	s_cbranch_execz .LBB0_224
; %bb.223:                              ;   in Loop: Header=BB0_15 Depth=1
	v_lshlrev_b32_e32 v6, 2, v32
	global_load_dword v7, v6, s[74:75]
	v_max_f32_e32 v22, v2, v2
	s_waitcnt vmcnt(0)
	v_max_f32_e32 v6, v7, v7
	v_max_f32_e32 v6, v22, v6
	v_sub_f32_e32 v2, v2, v6
	v_mul_f32_e32 v22, 0x3fb8aa3b, v2
	v_fma_f32 v23, v2, s47, -v22
	v_rndne_f32_e32 v24, v22
	v_fmac_f32_e32 v23, 0x32a5705f, v2
	v_sub_f32_e32 v22, v22, v24
	v_add_f32_e32 v22, v22, v23
	v_exp_f32_e32 v22, v22
	v_cvt_i32_f32_e32 v23, v24
	v_cmp_ngt_f32_e32 vcc, s69, v2
	v_sub_f32_e32 v7, v7, v6
	v_ldexp_f32 v22, v22, v23
	v_cndmask_b32_e32 v22, 0, v22, vcc
	v_cmp_nlt_f32_e32 vcc, s68, v2
	v_cndmask_b32_e32 v22, v221, v22, vcc
	v_cmp_le_f32_e32 vcc, s7, v2
	v_cndmask_b32_e32 v2, 0, v22, vcc
	v_cvt_f16_f32_e32 v22, v2
	v_cmp_ngt_f32_e32 vcc, s69, v7
	v_pk_mul_f16 v8, v22, v8 op_sel_hi:[0,1]
	v_pk_mul_f16 v1, v22, v1 op_sel_hi:[0,1]
	;; [unrolled: 1-line block ×16, first 2 shown]
	v_mul_f32_e32 v22, 0x3fb8aa3b, v7
	v_fma_f32 v23, v7, s47, -v22
	v_rndne_f32_e32 v24, v22
	v_fmac_f32_e32 v23, 0x32a5705f, v7
	v_sub_f32_e32 v22, v22, v24
	v_add_f32_e32 v22, v22, v23
	v_exp_f32_e32 v22, v22
	v_cvt_i32_f32_e32 v23, v24
	v_ldexp_f32 v22, v22, v23
	v_cndmask_b32_e32 v22, 0, v22, vcc
	v_cmp_nlt_f32_e32 vcc, s68, v7
	v_cndmask_b32_e32 v7, v221, v22, vcc
	v_fmac_f32_e32 v7, v3, v2
	v_pk_mov_b32 v[2:3], v[6:7], v[6:7] op_sel:[0,1]
.LBB0_224:                              ;   in Loop: Header=BB0_15 Depth=1
	s_or_b64 exec, exec, s[10:11]
	s_and_saveexec_b64 s[10:11], s[12:13]
	s_cbranch_execz .LBB0_226
; %bb.225:                              ;   in Loop: Header=BB0_15 Depth=1
	v_add_u32_e32 v6, 0, v202
	ds_write2_b32 v6, v2, v3 offset0:64 offset1:65
.LBB0_226:                              ;   in Loop: Header=BB0_15 Depth=1
	s_or_b64 exec, exec, s[10:11]
	s_waitcnt lgkmcnt(0)
	s_barrier
	s_and_saveexec_b64 s[8:9], s[4:5]
	s_xor_b64 s[10:11], exec, s[8:9]
	s_cbranch_execz .LBB0_228
; %bb.227:                              ;   in Loop: Header=BB0_15 Depth=1
	s_barrier
	s_waitcnt lgkmcnt(0)
                                        ; implicit-def: $vgpr21
.LBB0_228:                              ;   in Loop: Header=BB0_15 Depth=1
	s_andn2_saveexec_b64 s[10:11], s[10:11]
	s_cbranch_execz .LBB0_232
; %bb.229:                              ;   in Loop: Header=BB0_15 Depth=1
	v_add_u32_e32 v6, 0, v200
	ds_read_b64 v[2:3], v6 offset:256
	s_waitcnt lgkmcnt(0)
	s_barrier
	ds_bpermute_b32 v7, v21, v2
	v_max_f32_e32 v22, v2, v2
	s_waitcnt lgkmcnt(0)
	v_max_f32_e32 v7, v7, v7
	v_max_f32_e32 v7, v22, v7
	v_sub_f32_e32 v2, v2, v7
	v_mul_f32_e32 v7, 0x3fb8aa3b, v2
	v_fma_f32 v22, v2, s47, -v7
	v_rndne_f32_e32 v23, v7
	v_fmac_f32_e32 v22, 0x32a5705f, v2
	v_sub_f32_e32 v7, v7, v23
	v_add_f32_e32 v7, v7, v22
	v_cvt_i32_f32_e32 v23, v23
	v_exp_f32_e32 v7, v7
	v_cmp_ngt_f32_e32 vcc, s69, v2
	v_ldexp_f32 v7, v7, v23
	v_cndmask_b32_e32 v7, 0, v7, vcc
	v_cmp_nlt_f32_e32 vcc, s68, v2
	v_cndmask_b32_e32 v2, v221, v7, vcc
	v_mul_f32_e32 v3, v3, v2
	ds_bpermute_b32 v7, v21, v3
	s_mov_b64 s[14:15], exec
	v_readlane_b32 s8, v255, 16
	v_readlane_b32 s9, v255, 17
	s_and_b64 s[8:9], s[14:15], s[8:9]
	s_mov_b64 exec, s[8:9]
	s_cbranch_execz .LBB0_231
; %bb.230:                              ;   in Loop: Header=BB0_15 Depth=1
	s_waitcnt lgkmcnt(0)
	v_add_f32_e32 v3, v3, v7
	ds_write_b64 v6, v[2:3] offset:256
.LBB0_231:                              ;   in Loop: Header=BB0_15 Depth=1
	s_or_b64 exec, exec, s[14:15]
.LBB0_232:                              ;   in Loop: Header=BB0_15 Depth=1
	s_or_b64 exec, exec, s[10:11]
	ds_write2_b32 v201, v8, v1 offset1:1
	ds_write2_b32 v201, v10, v9 offset0:8 offset1:9
	ds_write2_b32 v201, v12, v11 offset0:16 offset1:17
	;; [unrolled: 1-line block ×7, first 2 shown]
	s_waitcnt lgkmcnt(0)
	s_barrier
	s_and_saveexec_b64 s[74:75], s[2:3]
	s_cbranch_execz .LBB0_13
; %bb.233:                              ;   in Loop: Header=BB0_15 Depth=1
	v_add_u32_e32 v2, s78, v220
	v_or_b32_e32 v1, s61, v50
	v_cmp_gt_i32_e32 vcc, s36, v2
	v_cmp_gt_i32_e64 s[10:11], s33, v1
	s_and_b64 s[8:9], vcc, s[10:11]
	v_mov_b32_e32 v1, 0x47
	s_and_saveexec_b64 s[14:15], s[8:9]
	s_cbranch_execz .LBB0_235
; %bb.234:                              ;   in Loop: Header=BB0_15 Depth=1
	v_add_u32_e32 v1, 0, v49
	ds_read2_b32 v[4:5], v1 offset0:64 offset1:65
	ds_read2st64_b32 v[6:7], v63 offset1:17
	ds_read_b32 v8, v1 offset:4608
	v_mad_u64_u32 v[2:3], s[8:9], v2, s37, v[50:51]
	v_lshl_add_u32 v2, v2, 6, v30
	s_waitcnt lgkmcnt(1)
	v_cvt_f32_f16_sdwa v11, v6 dst_sel:DWORD dst_unused:UNUSED_PAD src0_sel:WORD_1
	v_cvt_f32_f16_e32 v10, v6
	v_cvt_f32_f16_sdwa v13, v7 dst_sel:DWORD dst_unused:UNUSED_PAD src0_sel:WORD_1
	v_cvt_f32_f16_e32 v12, v7
	v_ashrrev_i32_e32 v3, 31, v2
	v_lshlrev_b64 v[2:3], 3, v[2:3]
	v_pk_fma_f32 v[10:11], v[4:5], v[10:11], 0 op_sel_hi:[0,1,0]
	v_add_co_u32_e32 v2, vcc, s53, v2
	v_mov_b32_e32 v1, s89
	s_waitcnt lgkmcnt(0)
	v_pk_fma_f32 v[6:7], v[8:9], v[12:13], v[10:11] op_sel_hi:[0,1,1]
	v_addc_co_u32_e32 v3, vcc, v1, v3, vcc
	v_div_scale_f32 v1, s[8:9], v5, v5, v7
	v_rcp_f32_e32 v4, v1
	v_fma_f32 v8, -v1, v4, 1.0
	v_fmac_f32_e32 v4, v8, v4
	v_div_scale_f32 v8, vcc, v7, v5, v7
	v_mul_f32_e32 v9, v8, v4
	v_fma_f32 v10, -v1, v9, v8
	v_fmac_f32_e32 v9, v10, v4
	v_fma_f32 v1, -v1, v9, v8
	v_div_fmas_f32 v1, v1, v4, v9
	v_div_fixup_f32 v7, v1, v5, v7
	v_div_scale_f32 v1, s[8:9], v5, v5, v6
	v_rcp_f32_e32 v4, v1
	v_fma_f32 v8, -v1, v4, 1.0
	v_fmac_f32_e32 v4, v8, v4
	v_div_scale_f32 v8, vcc, v6, v5, v6
	v_mul_f32_e32 v9, v8, v4
	v_fma_f32 v10, -v1, v9, v8
	v_fmac_f32_e32 v9, v10, v4
	v_fma_f32 v1, -v1, v9, v8
	v_div_fmas_f32 v1, v1, v4, v9
	v_div_fixup_f32 v6, v1, v5, v6
	v_mov_b32_e32 v1, 0
	global_store_dwordx2 v[2:3], v[6:7], off
.LBB0_235:                              ;   in Loop: Header=BB0_15 Depth=1
	s_or_b64 exec, exec, s[14:15]
	s_movk_i32 s8, 0x47
	v_cmp_gt_i32_e32 vcc, s8, v1
	s_mov_b64 s[14:15], -1
	s_and_saveexec_b64 s[76:77], vcc
; %bb.236:                              ;   in Loop: Header=BB0_15 Depth=1
	v_cmp_eq_u32_e32 vcc, 0, v1
	s_orn2_b64 s[14:15], vcc, exec
; %bb.237:                              ;   in Loop: Header=BB0_15 Depth=1
	s_or_b64 exec, exec, s[76:77]
	s_and_b64 exec, exec, s[14:15]
	s_cbranch_execz .LBB0_13
; %bb.238:                              ;   in Loop: Header=BB0_15 Depth=1
	v_accvgpr_read_b32 v4, a10
	v_add_u32_e32 v2, s78, v56
	v_or_b32_e32 v1, s61, v4
	v_cmp_gt_i32_e32 vcc, s36, v2
	v_cmp_gt_i32_e64 s[14:15], s33, v1
	s_and_b64 s[8:9], vcc, s[14:15]
	v_mov_b32_e32 v1, 0x47
	s_and_saveexec_b64 s[14:15], s[8:9]
	s_cbranch_execz .LBB0_240
; %bb.239:                              ;   in Loop: Header=BB0_15 Depth=1
	v_accvgpr_read_b32 v6, a10
	v_accvgpr_read_b32 v1, a11
	v_mad_u64_u32 v[2:3], s[8:9], v2, s37, v[6:7]
	v_add_u32_e32 v1, 0, v1
	v_accvgpr_read_b32 v3, a12
	ds_read2_b32 v[4:5], v1 offset0:64 offset1:65
	ds_read2st64_b32 v[6:7], v3 offset1:17
	ds_read_b32 v8, v1 offset:4608
	v_lshl_add_u32 v2, v2, 6, v30
	v_ashrrev_i32_e32 v3, 31, v2
	v_lshlrev_b64 v[2:3], 3, v[2:3]
	s_waitcnt lgkmcnt(1)
	v_cvt_f32_f16_sdwa v11, v6 dst_sel:DWORD dst_unused:UNUSED_PAD src0_sel:WORD_1
	v_cvt_f32_f16_e32 v10, v6
	v_cvt_f32_f16_sdwa v13, v7 dst_sel:DWORD dst_unused:UNUSED_PAD src0_sel:WORD_1
	v_cvt_f32_f16_e32 v12, v7
	v_add_co_u32_e32 v2, vcc, s53, v2
	v_pk_fma_f32 v[10:11], v[4:5], v[10:11], 0 op_sel_hi:[0,1,0]
	v_mov_b32_e32 v1, s89
	s_waitcnt lgkmcnt(0)
	v_pk_fma_f32 v[6:7], v[8:9], v[12:13], v[10:11] op_sel_hi:[0,1,1]
	v_addc_co_u32_e32 v3, vcc, v1, v3, vcc
	v_div_scale_f32 v1, s[8:9], v5, v5, v7
	v_rcp_f32_e32 v4, v1
	v_fma_f32 v8, -v1, v4, 1.0
	v_fmac_f32_e32 v4, v8, v4
	v_div_scale_f32 v8, vcc, v7, v5, v7
	v_mul_f32_e32 v9, v8, v4
	v_fma_f32 v10, -v1, v9, v8
	v_fmac_f32_e32 v9, v10, v4
	v_fma_f32 v1, -v1, v9, v8
	v_div_fmas_f32 v1, v1, v4, v9
	v_div_fixup_f32 v7, v1, v5, v7
	v_div_scale_f32 v1, s[8:9], v5, v5, v6
	v_rcp_f32_e32 v4, v1
	v_fma_f32 v8, -v1, v4, 1.0
	v_fmac_f32_e32 v4, v8, v4
	v_div_scale_f32 v8, vcc, v6, v5, v6
	v_mul_f32_e32 v9, v8, v4
	v_fma_f32 v10, -v1, v9, v8
	v_fmac_f32_e32 v9, v10, v4
	v_fma_f32 v1, -v1, v9, v8
	v_div_fmas_f32 v1, v1, v4, v9
	v_div_fixup_f32 v6, v1, v5, v6
	v_mov_b32_e32 v1, 0
	global_store_dwordx2 v[2:3], v[6:7], off
.LBB0_240:                              ;   in Loop: Header=BB0_15 Depth=1
	s_or_b64 exec, exec, s[14:15]
	s_movk_i32 s8, 0x47
	v_cmp_gt_i32_e32 vcc, s8, v1
	s_mov_b64 s[14:15], -1
	s_and_saveexec_b64 s[76:77], vcc
; %bb.241:                              ;   in Loop: Header=BB0_15 Depth=1
	v_cmp_eq_u32_e32 vcc, 0, v1
	s_orn2_b64 s[14:15], vcc, exec
; %bb.242:                              ;   in Loop: Header=BB0_15 Depth=1
	s_or_b64 exec, exec, s[76:77]
	s_and_b64 exec, exec, s[14:15]
	s_cbranch_execz .LBB0_13
; %bb.243:                              ;   in Loop: Header=BB0_15 Depth=1
	v_accvgpr_read_b32 v1, a13
	v_accvgpr_read_b32 v4, a14
	v_add_u32_e32 v2, s78, v1
	v_or_b32_e32 v1, s61, v4
	v_cmp_gt_i32_e32 vcc, s36, v2
	v_cmp_gt_i32_e64 s[14:15], s33, v1
	s_and_b64 s[8:9], vcc, s[14:15]
	v_mov_b32_e32 v1, 0x47
	s_and_saveexec_b64 s[14:15], s[8:9]
	s_cbranch_execz .LBB0_245
; %bb.244:                              ;   in Loop: Header=BB0_15 Depth=1
	v_accvgpr_read_b32 v6, a14
	v_accvgpr_read_b32 v1, a15
	v_mad_u64_u32 v[2:3], s[8:9], v2, s37, v[6:7]
	v_add_u32_e32 v1, 0, v1
	v_accvgpr_read_b32 v3, a16
	ds_read2_b32 v[4:5], v1 offset0:64 offset1:65
	ds_read2st64_b32 v[6:7], v3 offset1:17
	ds_read_b32 v8, v1 offset:4608
	v_lshl_add_u32 v2, v2, 6, v30
	v_ashrrev_i32_e32 v3, 31, v2
	v_lshlrev_b64 v[2:3], 3, v[2:3]
	s_waitcnt lgkmcnt(1)
	v_cvt_f32_f16_sdwa v11, v6 dst_sel:DWORD dst_unused:UNUSED_PAD src0_sel:WORD_1
	v_cvt_f32_f16_e32 v10, v6
	v_cvt_f32_f16_sdwa v13, v7 dst_sel:DWORD dst_unused:UNUSED_PAD src0_sel:WORD_1
	v_cvt_f32_f16_e32 v12, v7
	v_add_co_u32_e32 v2, vcc, s53, v2
	v_pk_fma_f32 v[10:11], v[4:5], v[10:11], 0 op_sel_hi:[0,1,0]
	v_mov_b32_e32 v1, s89
	s_waitcnt lgkmcnt(0)
	v_pk_fma_f32 v[6:7], v[8:9], v[12:13], v[10:11] op_sel_hi:[0,1,1]
	v_addc_co_u32_e32 v3, vcc, v1, v3, vcc
	v_div_scale_f32 v1, s[8:9], v5, v5, v7
	v_rcp_f32_e32 v4, v1
	v_fma_f32 v8, -v1, v4, 1.0
	v_fmac_f32_e32 v4, v8, v4
	v_div_scale_f32 v8, vcc, v7, v5, v7
	v_mul_f32_e32 v9, v8, v4
	v_fma_f32 v10, -v1, v9, v8
	v_fmac_f32_e32 v9, v10, v4
	v_fma_f32 v1, -v1, v9, v8
	v_div_fmas_f32 v1, v1, v4, v9
	v_div_fixup_f32 v7, v1, v5, v7
	v_div_scale_f32 v1, s[8:9], v5, v5, v6
	v_rcp_f32_e32 v4, v1
	v_fma_f32 v8, -v1, v4, 1.0
	v_fmac_f32_e32 v4, v8, v4
	v_div_scale_f32 v8, vcc, v6, v5, v6
	v_mul_f32_e32 v9, v8, v4
	v_fma_f32 v10, -v1, v9, v8
	v_fmac_f32_e32 v9, v10, v4
	v_fma_f32 v1, -v1, v9, v8
	v_div_fmas_f32 v1, v1, v4, v9
	v_div_fixup_f32 v6, v1, v5, v6
	v_mov_b32_e32 v1, 0
	global_store_dwordx2 v[2:3], v[6:7], off
.LBB0_245:                              ;   in Loop: Header=BB0_15 Depth=1
	s_or_b64 exec, exec, s[14:15]
	s_movk_i32 s8, 0x47
	v_cmp_gt_i32_e32 vcc, s8, v1
	s_mov_b64 s[14:15], -1
	s_and_saveexec_b64 s[76:77], vcc
; %bb.246:                              ;   in Loop: Header=BB0_15 Depth=1
	v_cmp_eq_u32_e32 vcc, 0, v1
	s_orn2_b64 s[14:15], vcc, exec
; %bb.247:                              ;   in Loop: Header=BB0_15 Depth=1
	s_or_b64 exec, exec, s[76:77]
	s_and_b64 exec, exec, s[14:15]
	s_cbranch_execz .LBB0_13
; %bb.248:                              ;   in Loop: Header=BB0_15 Depth=1
	v_accvgpr_read_b32 v1, a17
	v_accvgpr_read_b32 v4, a18
	v_add_u32_e32 v2, s78, v1
	v_or_b32_e32 v1, s61, v4
	v_cmp_gt_i32_e32 vcc, s36, v2
	v_cmp_gt_i32_e64 s[14:15], s33, v1
	s_and_b64 s[8:9], vcc, s[14:15]
	v_mov_b32_e32 v1, 0x47
	s_and_saveexec_b64 s[14:15], s[8:9]
	s_cbranch_execz .LBB0_250
; %bb.249:                              ;   in Loop: Header=BB0_15 Depth=1
	v_accvgpr_read_b32 v6, a18
	v_accvgpr_read_b32 v1, a19
	v_mad_u64_u32 v[2:3], s[8:9], v2, s37, v[6:7]
	v_add_u32_e32 v1, 0, v1
	v_accvgpr_read_b32 v3, a20
	ds_read2_b32 v[4:5], v1 offset0:64 offset1:65
	ds_read2st64_b32 v[6:7], v3 offset1:17
	ds_read_b32 v8, v1 offset:4608
	v_lshl_add_u32 v2, v2, 6, v30
	v_ashrrev_i32_e32 v3, 31, v2
	v_lshlrev_b64 v[2:3], 3, v[2:3]
	s_waitcnt lgkmcnt(1)
	v_cvt_f32_f16_sdwa v11, v6 dst_sel:DWORD dst_unused:UNUSED_PAD src0_sel:WORD_1
	v_cvt_f32_f16_e32 v10, v6
	v_cvt_f32_f16_sdwa v13, v7 dst_sel:DWORD dst_unused:UNUSED_PAD src0_sel:WORD_1
	v_cvt_f32_f16_e32 v12, v7
	v_add_co_u32_e32 v2, vcc, s53, v2
	v_pk_fma_f32 v[10:11], v[4:5], v[10:11], 0 op_sel_hi:[0,1,0]
	v_mov_b32_e32 v1, s89
	s_waitcnt lgkmcnt(0)
	v_pk_fma_f32 v[6:7], v[8:9], v[12:13], v[10:11] op_sel_hi:[0,1,1]
	v_addc_co_u32_e32 v3, vcc, v1, v3, vcc
	v_div_scale_f32 v1, s[8:9], v5, v5, v7
	v_rcp_f32_e32 v4, v1
	v_fma_f32 v8, -v1, v4, 1.0
	v_fmac_f32_e32 v4, v8, v4
	v_div_scale_f32 v8, vcc, v7, v5, v7
	v_mul_f32_e32 v9, v8, v4
	v_fma_f32 v10, -v1, v9, v8
	v_fmac_f32_e32 v9, v10, v4
	v_fma_f32 v1, -v1, v9, v8
	v_div_fmas_f32 v1, v1, v4, v9
	v_div_fixup_f32 v7, v1, v5, v7
	v_div_scale_f32 v1, s[8:9], v5, v5, v6
	v_rcp_f32_e32 v4, v1
	v_fma_f32 v8, -v1, v4, 1.0
	v_fmac_f32_e32 v4, v8, v4
	v_div_scale_f32 v8, vcc, v6, v5, v6
	v_mul_f32_e32 v9, v8, v4
	v_fma_f32 v10, -v1, v9, v8
	v_fmac_f32_e32 v9, v10, v4
	v_fma_f32 v1, -v1, v9, v8
	v_div_fmas_f32 v1, v1, v4, v9
	v_div_fixup_f32 v6, v1, v5, v6
	v_mov_b32_e32 v1, 0
	global_store_dwordx2 v[2:3], v[6:7], off
.LBB0_250:                              ;   in Loop: Header=BB0_15 Depth=1
	s_or_b64 exec, exec, s[14:15]
	s_movk_i32 s8, 0x47
	v_cmp_gt_i32_e32 vcc, s8, v1
	s_mov_b64 s[14:15], -1
	s_and_saveexec_b64 s[76:77], vcc
; %bb.251:                              ;   in Loop: Header=BB0_15 Depth=1
	v_cmp_eq_u32_e32 vcc, 0, v1
	s_orn2_b64 s[14:15], vcc, exec
; %bb.252:                              ;   in Loop: Header=BB0_15 Depth=1
	s_or_b64 exec, exec, s[76:77]
	s_and_b64 exec, exec, s[14:15]
	s_cbranch_execz .LBB0_13
; %bb.253:                              ;   in Loop: Header=BB0_15 Depth=1
	v_accvgpr_read_b32 v1, a21
	v_accvgpr_read_b32 v4, a22
	v_add_u32_e32 v2, s78, v1
	v_or_b32_e32 v1, s61, v4
	v_cmp_gt_i32_e32 vcc, s36, v2
	v_cmp_gt_i32_e64 s[14:15], s33, v1
	s_and_b64 s[8:9], vcc, s[14:15]
	v_mov_b32_e32 v1, 0x47
	s_and_saveexec_b64 s[14:15], s[8:9]
	s_cbranch_execz .LBB0_255
; %bb.254:                              ;   in Loop: Header=BB0_15 Depth=1
	v_accvgpr_read_b32 v6, a22
	v_accvgpr_read_b32 v1, a23
	v_mad_u64_u32 v[2:3], s[8:9], v2, s37, v[6:7]
	v_add_u32_e32 v1, 0, v1
	v_accvgpr_read_b32 v3, a24
	ds_read2_b32 v[4:5], v1 offset0:64 offset1:65
	ds_read2st64_b32 v[6:7], v3 offset1:17
	ds_read_b32 v8, v1 offset:4608
	v_lshl_add_u32 v2, v2, 6, v30
	v_ashrrev_i32_e32 v3, 31, v2
	v_lshlrev_b64 v[2:3], 3, v[2:3]
	s_waitcnt lgkmcnt(1)
	v_cvt_f32_f16_sdwa v11, v6 dst_sel:DWORD dst_unused:UNUSED_PAD src0_sel:WORD_1
	v_cvt_f32_f16_e32 v10, v6
	v_cvt_f32_f16_sdwa v13, v7 dst_sel:DWORD dst_unused:UNUSED_PAD src0_sel:WORD_1
	v_cvt_f32_f16_e32 v12, v7
	v_add_co_u32_e32 v2, vcc, s53, v2
	v_pk_fma_f32 v[10:11], v[4:5], v[10:11], 0 op_sel_hi:[0,1,0]
	v_mov_b32_e32 v1, s89
	s_waitcnt lgkmcnt(0)
	v_pk_fma_f32 v[6:7], v[8:9], v[12:13], v[10:11] op_sel_hi:[0,1,1]
	v_addc_co_u32_e32 v3, vcc, v1, v3, vcc
	v_div_scale_f32 v1, s[8:9], v5, v5, v7
	v_rcp_f32_e32 v4, v1
	v_fma_f32 v8, -v1, v4, 1.0
	v_fmac_f32_e32 v4, v8, v4
	v_div_scale_f32 v8, vcc, v7, v5, v7
	v_mul_f32_e32 v9, v8, v4
	v_fma_f32 v10, -v1, v9, v8
	v_fmac_f32_e32 v9, v10, v4
	v_fma_f32 v1, -v1, v9, v8
	v_div_fmas_f32 v1, v1, v4, v9
	v_div_fixup_f32 v7, v1, v5, v7
	v_div_scale_f32 v1, s[8:9], v5, v5, v6
	v_rcp_f32_e32 v4, v1
	v_fma_f32 v8, -v1, v4, 1.0
	v_fmac_f32_e32 v4, v8, v4
	v_div_scale_f32 v8, vcc, v6, v5, v6
	v_mul_f32_e32 v9, v8, v4
	v_fma_f32 v10, -v1, v9, v8
	v_fmac_f32_e32 v9, v10, v4
	v_fma_f32 v1, -v1, v9, v8
	v_div_fmas_f32 v1, v1, v4, v9
	v_div_fixup_f32 v6, v1, v5, v6
	v_mov_b32_e32 v1, 0
	global_store_dwordx2 v[2:3], v[6:7], off
.LBB0_255:                              ;   in Loop: Header=BB0_15 Depth=1
	s_or_b64 exec, exec, s[14:15]
	s_movk_i32 s8, 0x47
	v_cmp_gt_i32_e32 vcc, s8, v1
	s_mov_b64 s[14:15], -1
	s_and_saveexec_b64 s[76:77], vcc
; %bb.256:                              ;   in Loop: Header=BB0_15 Depth=1
	v_cmp_eq_u32_e32 vcc, 0, v1
	s_orn2_b64 s[14:15], vcc, exec
; %bb.257:                              ;   in Loop: Header=BB0_15 Depth=1
	s_or_b64 exec, exec, s[76:77]
	s_and_b64 exec, exec, s[14:15]
	s_cbranch_execz .LBB0_13
; %bb.258:                              ;   in Loop: Header=BB0_15 Depth=1
	v_accvgpr_read_b32 v1, a25
	v_accvgpr_read_b32 v4, a26
	v_add_u32_e32 v2, s78, v1
	v_or_b32_e32 v1, s61, v4
	v_cmp_gt_i32_e32 vcc, s36, v2
	v_cmp_gt_i32_e64 s[14:15], s33, v1
	s_and_b64 s[8:9], vcc, s[14:15]
	v_mov_b32_e32 v1, 0x47
	s_and_saveexec_b64 s[14:15], s[8:9]
	s_cbranch_execz .LBB0_260
; %bb.259:                              ;   in Loop: Header=BB0_15 Depth=1
	v_accvgpr_read_b32 v6, a26
	v_accvgpr_read_b32 v1, a27
	v_mad_u64_u32 v[2:3], s[8:9], v2, s37, v[6:7]
	v_add_u32_e32 v1, 0, v1
	v_accvgpr_read_b32 v3, a28
	ds_read2_b32 v[4:5], v1 offset0:64 offset1:65
	ds_read2st64_b32 v[6:7], v3 offset1:17
	ds_read_b32 v8, v1 offset:4608
	v_lshl_add_u32 v2, v2, 6, v30
	v_ashrrev_i32_e32 v3, 31, v2
	v_lshlrev_b64 v[2:3], 3, v[2:3]
	s_waitcnt lgkmcnt(1)
	v_cvt_f32_f16_sdwa v11, v6 dst_sel:DWORD dst_unused:UNUSED_PAD src0_sel:WORD_1
	v_cvt_f32_f16_e32 v10, v6
	v_cvt_f32_f16_sdwa v13, v7 dst_sel:DWORD dst_unused:UNUSED_PAD src0_sel:WORD_1
	v_cvt_f32_f16_e32 v12, v7
	v_add_co_u32_e32 v2, vcc, s53, v2
	v_pk_fma_f32 v[10:11], v[4:5], v[10:11], 0 op_sel_hi:[0,1,0]
	v_mov_b32_e32 v1, s89
	s_waitcnt lgkmcnt(0)
	v_pk_fma_f32 v[6:7], v[8:9], v[12:13], v[10:11] op_sel_hi:[0,1,1]
	v_addc_co_u32_e32 v3, vcc, v1, v3, vcc
	v_div_scale_f32 v1, s[8:9], v5, v5, v7
	v_rcp_f32_e32 v4, v1
	v_fma_f32 v8, -v1, v4, 1.0
	v_fmac_f32_e32 v4, v8, v4
	v_div_scale_f32 v8, vcc, v7, v5, v7
	v_mul_f32_e32 v9, v8, v4
	v_fma_f32 v10, -v1, v9, v8
	v_fmac_f32_e32 v9, v10, v4
	v_fma_f32 v1, -v1, v9, v8
	v_div_fmas_f32 v1, v1, v4, v9
	v_div_fixup_f32 v7, v1, v5, v7
	v_div_scale_f32 v1, s[8:9], v5, v5, v6
	v_rcp_f32_e32 v4, v1
	v_fma_f32 v8, -v1, v4, 1.0
	v_fmac_f32_e32 v4, v8, v4
	v_div_scale_f32 v8, vcc, v6, v5, v6
	v_mul_f32_e32 v9, v8, v4
	v_fma_f32 v10, -v1, v9, v8
	v_fmac_f32_e32 v9, v10, v4
	v_fma_f32 v1, -v1, v9, v8
	v_div_fmas_f32 v1, v1, v4, v9
	v_div_fixup_f32 v6, v1, v5, v6
	v_mov_b32_e32 v1, 0
	global_store_dwordx2 v[2:3], v[6:7], off
.LBB0_260:                              ;   in Loop: Header=BB0_15 Depth=1
	s_or_b64 exec, exec, s[14:15]
	s_movk_i32 s8, 0x47
	v_cmp_gt_i32_e32 vcc, s8, v1
	s_mov_b64 s[14:15], -1
	s_and_saveexec_b64 s[76:77], vcc
; %bb.261:                              ;   in Loop: Header=BB0_15 Depth=1
	v_cmp_eq_u32_e32 vcc, 0, v1
	s_orn2_b64 s[14:15], vcc, exec
; %bb.262:                              ;   in Loop: Header=BB0_15 Depth=1
	s_or_b64 exec, exec, s[76:77]
	s_and_b64 exec, exec, s[14:15]
	s_cbranch_execz .LBB0_13
; %bb.263:                              ;   in Loop: Header=BB0_15 Depth=1
	v_accvgpr_read_b32 v1, a29
	v_accvgpr_read_b32 v4, a30
	v_add_u32_e32 v2, s78, v1
	v_or_b32_e32 v1, s61, v4
	v_cmp_gt_i32_e32 vcc, s36, v2
	v_cmp_gt_i32_e64 s[14:15], s33, v1
	s_and_b64 s[8:9], vcc, s[14:15]
	v_mov_b32_e32 v1, 0x47
	s_and_saveexec_b64 s[14:15], s[8:9]
	s_cbranch_execz .LBB0_265
; %bb.264:                              ;   in Loop: Header=BB0_15 Depth=1
	v_accvgpr_read_b32 v6, a30
	v_accvgpr_read_b32 v1, a31
	v_mad_u64_u32 v[2:3], s[8:9], v2, s37, v[6:7]
	v_add_u32_e32 v1, 0, v1
	v_accvgpr_read_b32 v3, a32
	ds_read2_b32 v[4:5], v1 offset0:64 offset1:65
	ds_read2st64_b32 v[6:7], v3 offset1:17
	ds_read_b32 v8, v1 offset:4608
	v_lshl_add_u32 v2, v2, 6, v30
	v_ashrrev_i32_e32 v3, 31, v2
	v_lshlrev_b64 v[2:3], 3, v[2:3]
	s_waitcnt lgkmcnt(1)
	v_cvt_f32_f16_sdwa v11, v6 dst_sel:DWORD dst_unused:UNUSED_PAD src0_sel:WORD_1
	v_cvt_f32_f16_e32 v10, v6
	v_cvt_f32_f16_sdwa v13, v7 dst_sel:DWORD dst_unused:UNUSED_PAD src0_sel:WORD_1
	v_cvt_f32_f16_e32 v12, v7
	v_add_co_u32_e32 v2, vcc, s53, v2
	v_pk_fma_f32 v[10:11], v[4:5], v[10:11], 0 op_sel_hi:[0,1,0]
	v_mov_b32_e32 v1, s89
	s_waitcnt lgkmcnt(0)
	v_pk_fma_f32 v[6:7], v[8:9], v[12:13], v[10:11] op_sel_hi:[0,1,1]
	v_addc_co_u32_e32 v3, vcc, v1, v3, vcc
	v_div_scale_f32 v1, s[8:9], v5, v5, v7
	v_rcp_f32_e32 v4, v1
	v_fma_f32 v8, -v1, v4, 1.0
	v_fmac_f32_e32 v4, v8, v4
	v_div_scale_f32 v8, vcc, v7, v5, v7
	v_mul_f32_e32 v9, v8, v4
	v_fma_f32 v10, -v1, v9, v8
	v_fmac_f32_e32 v9, v10, v4
	v_fma_f32 v1, -v1, v9, v8
	v_div_fmas_f32 v1, v1, v4, v9
	v_div_fixup_f32 v7, v1, v5, v7
	v_div_scale_f32 v1, s[8:9], v5, v5, v6
	v_rcp_f32_e32 v4, v1
	v_fma_f32 v8, -v1, v4, 1.0
	v_fmac_f32_e32 v4, v8, v4
	v_div_scale_f32 v8, vcc, v6, v5, v6
	v_mul_f32_e32 v9, v8, v4
	v_fma_f32 v10, -v1, v9, v8
	v_fmac_f32_e32 v9, v10, v4
	v_fma_f32 v1, -v1, v9, v8
	v_div_fmas_f32 v1, v1, v4, v9
	v_div_fixup_f32 v6, v1, v5, v6
	v_mov_b32_e32 v1, 0
	global_store_dwordx2 v[2:3], v[6:7], off
.LBB0_265:                              ;   in Loop: Header=BB0_15 Depth=1
	s_or_b64 exec, exec, s[14:15]
	s_movk_i32 s8, 0x47
	v_cmp_gt_i32_e32 vcc, s8, v1
	s_mov_b64 s[14:15], -1
	s_and_saveexec_b64 s[76:77], vcc
; %bb.266:                              ;   in Loop: Header=BB0_15 Depth=1
	v_cmp_eq_u32_e32 vcc, 0, v1
	s_orn2_b64 s[14:15], vcc, exec
; %bb.267:                              ;   in Loop: Header=BB0_15 Depth=1
	s_or_b64 exec, exec, s[76:77]
	s_and_b64 exec, exec, s[14:15]
	s_cbranch_execz .LBB0_13
; %bb.268:                              ;   in Loop: Header=BB0_15 Depth=1
	v_accvgpr_read_b32 v1, a33
	v_accvgpr_read_b32 v4, a34
	v_add_u32_e32 v2, s78, v1
	v_or_b32_e32 v1, s61, v4
	v_cmp_gt_i32_e32 vcc, s36, v2
	v_cmp_gt_i32_e64 s[14:15], s33, v1
	s_and_b64 s[8:9], vcc, s[14:15]
	v_mov_b32_e32 v1, 0x47
	s_and_saveexec_b64 s[14:15], s[8:9]
	s_cbranch_execz .LBB0_270
; %bb.269:                              ;   in Loop: Header=BB0_15 Depth=1
	v_accvgpr_read_b32 v6, a34
	v_accvgpr_read_b32 v1, a35
	v_mad_u64_u32 v[2:3], s[8:9], v2, s37, v[6:7]
	v_add_u32_e32 v1, 0, v1
	v_accvgpr_read_b32 v3, a36
	ds_read2_b32 v[4:5], v1 offset0:64 offset1:65
	ds_read2st64_b32 v[6:7], v3 offset1:17
	ds_read_b32 v8, v1 offset:4608
	v_lshl_add_u32 v2, v2, 6, v30
	v_ashrrev_i32_e32 v3, 31, v2
	v_lshlrev_b64 v[2:3], 3, v[2:3]
	s_waitcnt lgkmcnt(1)
	v_cvt_f32_f16_sdwa v11, v6 dst_sel:DWORD dst_unused:UNUSED_PAD src0_sel:WORD_1
	v_cvt_f32_f16_e32 v10, v6
	v_cvt_f32_f16_sdwa v13, v7 dst_sel:DWORD dst_unused:UNUSED_PAD src0_sel:WORD_1
	v_cvt_f32_f16_e32 v12, v7
	v_add_co_u32_e32 v2, vcc, s53, v2
	v_pk_fma_f32 v[10:11], v[4:5], v[10:11], 0 op_sel_hi:[0,1,0]
	v_mov_b32_e32 v1, s89
	s_waitcnt lgkmcnt(0)
	v_pk_fma_f32 v[6:7], v[8:9], v[12:13], v[10:11] op_sel_hi:[0,1,1]
	v_addc_co_u32_e32 v3, vcc, v1, v3, vcc
	v_div_scale_f32 v1, s[8:9], v5, v5, v7
	v_rcp_f32_e32 v4, v1
	v_fma_f32 v8, -v1, v4, 1.0
	v_fmac_f32_e32 v4, v8, v4
	v_div_scale_f32 v8, vcc, v7, v5, v7
	v_mul_f32_e32 v9, v8, v4
	v_fma_f32 v10, -v1, v9, v8
	v_fmac_f32_e32 v9, v10, v4
	v_fma_f32 v1, -v1, v9, v8
	v_div_fmas_f32 v1, v1, v4, v9
	v_div_fixup_f32 v7, v1, v5, v7
	v_div_scale_f32 v1, s[8:9], v5, v5, v6
	v_rcp_f32_e32 v4, v1
	v_fma_f32 v8, -v1, v4, 1.0
	v_fmac_f32_e32 v4, v8, v4
	v_div_scale_f32 v8, vcc, v6, v5, v6
	v_mul_f32_e32 v9, v8, v4
	v_fma_f32 v10, -v1, v9, v8
	v_fmac_f32_e32 v9, v10, v4
	v_fma_f32 v1, -v1, v9, v8
	v_div_fmas_f32 v1, v1, v4, v9
	v_div_fixup_f32 v6, v1, v5, v6
	v_mov_b32_e32 v1, 0
	global_store_dwordx2 v[2:3], v[6:7], off
.LBB0_270:                              ;   in Loop: Header=BB0_15 Depth=1
	s_or_b64 exec, exec, s[14:15]
	s_movk_i32 s8, 0x47
	v_cmp_gt_i32_e32 vcc, s8, v1
	s_mov_b64 s[14:15], -1
	s_and_saveexec_b64 s[76:77], vcc
; %bb.271:                              ;   in Loop: Header=BB0_15 Depth=1
	v_cmp_eq_u32_e32 vcc, 0, v1
	s_orn2_b64 s[14:15], vcc, exec
; %bb.272:                              ;   in Loop: Header=BB0_15 Depth=1
	s_or_b64 exec, exec, s[76:77]
	s_and_b64 exec, exec, s[14:15]
	s_cbranch_execz .LBB0_13
; %bb.273:                              ;   in Loop: Header=BB0_15 Depth=1
	v_accvgpr_read_b32 v1, a37
	v_add_u32_e32 v2, s78, v1
	v_cmp_gt_i32_e32 vcc, s36, v2
	s_and_b64 s[8:9], vcc, s[10:11]
	v_mov_b32_e32 v1, 0x47
	s_and_saveexec_b64 s[10:11], s[8:9]
	s_cbranch_execz .LBB0_275
; %bb.274:                              ;   in Loop: Header=BB0_15 Depth=1
	v_mad_u64_u32 v[2:3], s[8:9], v2, s37, v[50:51]
	v_accvgpr_read_b32 v1, a38
	v_accvgpr_read_b32 v3, a39
	v_add_u32_e32 v1, 0, v1
	ds_read2st64_b32 v[4:5], v3 offset1:17
	ds_read2_b32 v[6:7], v1 offset0:64 offset1:65
	ds_read_b32 v8, v1 offset:4608
	v_lshl_add_u32 v2, v2, 6, v30
	v_ashrrev_i32_e32 v3, 31, v2
	s_waitcnt lgkmcnt(2)
	v_cvt_f32_f16_sdwa v11, v4 dst_sel:DWORD dst_unused:UNUSED_PAD src0_sel:WORD_1
	v_cvt_f32_f16_e32 v10, v4
	v_cvt_f32_f16_sdwa v13, v5 dst_sel:DWORD dst_unused:UNUSED_PAD src0_sel:WORD_1
	v_cvt_f32_f16_e32 v12, v5
	v_lshlrev_b64 v[2:3], 3, v[2:3]
	s_waitcnt lgkmcnt(1)
	v_pk_fma_f32 v[4:5], v[6:7], v[10:11], 0 op_sel_hi:[0,1,0]
	v_mov_b32_e32 v1, s89
	s_waitcnt lgkmcnt(0)
	v_pk_fma_f32 v[4:5], v[8:9], v[12:13], v[4:5] op_sel_hi:[0,1,1]
	v_div_scale_f32 v6, s[8:9], v7, v7, v5
	v_rcp_f32_e32 v8, v6
	v_add_co_u32_e32 v2, vcc, s53, v2
	v_addc_co_u32_e32 v3, vcc, v1, v3, vcc
	v_fma_f32 v1, -v6, v8, 1.0
	v_fmac_f32_e32 v8, v1, v8
	v_div_scale_f32 v1, vcc, v5, v7, v5
	v_mul_f32_e32 v9, v1, v8
	v_fma_f32 v10, -v6, v9, v1
	v_fmac_f32_e32 v9, v10, v8
	v_fma_f32 v1, -v6, v9, v1
	v_div_scale_f32 v6, s[8:9], v7, v7, v4
	v_rcp_f32_e32 v10, v6
	v_div_fmas_f32 v1, v1, v8, v9
	v_div_fixup_f32 v5, v1, v7, v5
	v_fma_f32 v1, -v6, v10, 1.0
	v_fmac_f32_e32 v10, v1, v10
	v_div_scale_f32 v1, vcc, v4, v7, v4
	v_mul_f32_e32 v8, v1, v10
	v_fma_f32 v9, -v6, v8, v1
	v_fmac_f32_e32 v8, v9, v10
	v_fma_f32 v1, -v6, v8, v1
	v_div_fmas_f32 v1, v1, v10, v8
	v_div_fixup_f32 v4, v1, v7, v4
	v_mov_b32_e32 v1, 0
	global_store_dwordx2 v[2:3], v[4:5], off
.LBB0_275:                              ;   in Loop: Header=BB0_15 Depth=1
	s_or_b64 exec, exec, s[10:11]
	s_movk_i32 s8, 0x47
	v_cmp_gt_i32_e32 vcc, s8, v1
	s_mov_b64 s[10:11], -1
	s_and_saveexec_b64 s[14:15], vcc
; %bb.276:                              ;   in Loop: Header=BB0_15 Depth=1
	v_cmp_eq_u32_e32 vcc, 0, v1
	s_orn2_b64 s[10:11], vcc, exec
; %bb.277:                              ;   in Loop: Header=BB0_15 Depth=1
	s_or_b64 exec, exec, s[14:15]
	s_and_b64 exec, exec, s[10:11]
	s_cbranch_execz .LBB0_13
; %bb.278:                              ;   in Loop: Header=BB0_15 Depth=1
	v_accvgpr_read_b32 v1, a40
	v_accvgpr_read_b32 v4, a42
	v_add_u32_e32 v2, s78, v1
	v_or_b32_e32 v1, s61, v4
	v_cmp_gt_i32_e32 vcc, s36, v2
	v_cmp_gt_i32_e64 s[10:11], s33, v1
	s_and_b64 s[8:9], vcc, s[10:11]
	v_mov_b32_e32 v1, 0x47
	s_and_saveexec_b64 s[10:11], s[8:9]
	s_cbranch_execz .LBB0_280
; %bb.279:                              ;   in Loop: Header=BB0_15 Depth=1
	v_accvgpr_read_b32 v4, a42
	v_mad_u64_u32 v[2:3], s[8:9], v2, s37, v[4:5]
	v_accvgpr_read_b32 v1, a41
	v_accvgpr_read_b32 v3, a43
	v_add_u32_e32 v1, 0, v1
	ds_read2st64_b32 v[4:5], v3 offset1:17
	ds_read2_b32 v[6:7], v1 offset0:64 offset1:65
	ds_read_b32 v8, v1 offset:4608
	v_lshl_add_u32 v2, v2, 6, v30
	v_ashrrev_i32_e32 v3, 31, v2
	s_waitcnt lgkmcnt(2)
	v_cvt_f32_f16_sdwa v11, v4 dst_sel:DWORD dst_unused:UNUSED_PAD src0_sel:WORD_1
	v_cvt_f32_f16_e32 v10, v4
	v_cvt_f32_f16_sdwa v13, v5 dst_sel:DWORD dst_unused:UNUSED_PAD src0_sel:WORD_1
	v_cvt_f32_f16_e32 v12, v5
	v_lshlrev_b64 v[2:3], 3, v[2:3]
	s_waitcnt lgkmcnt(1)
	v_pk_fma_f32 v[4:5], v[6:7], v[10:11], 0 op_sel_hi:[0,1,0]
	v_mov_b32_e32 v1, s89
	s_waitcnt lgkmcnt(0)
	v_pk_fma_f32 v[4:5], v[8:9], v[12:13], v[4:5] op_sel_hi:[0,1,1]
	v_div_scale_f32 v6, s[8:9], v7, v7, v5
	v_rcp_f32_e32 v8, v6
	v_add_co_u32_e32 v2, vcc, s53, v2
	v_addc_co_u32_e32 v3, vcc, v1, v3, vcc
	v_fma_f32 v1, -v6, v8, 1.0
	v_fmac_f32_e32 v8, v1, v8
	v_div_scale_f32 v1, vcc, v5, v7, v5
	v_mul_f32_e32 v9, v1, v8
	v_fma_f32 v10, -v6, v9, v1
	v_fmac_f32_e32 v9, v10, v8
	v_fma_f32 v1, -v6, v9, v1
	v_div_scale_f32 v6, s[8:9], v7, v7, v4
	v_rcp_f32_e32 v10, v6
	v_div_fmas_f32 v1, v1, v8, v9
	v_div_fixup_f32 v5, v1, v7, v5
	v_fma_f32 v1, -v6, v10, 1.0
	v_fmac_f32_e32 v10, v1, v10
	v_div_scale_f32 v1, vcc, v4, v7, v4
	v_mul_f32_e32 v8, v1, v10
	v_fma_f32 v9, -v6, v8, v1
	v_fmac_f32_e32 v8, v9, v10
	v_fma_f32 v1, -v6, v8, v1
	v_div_fmas_f32 v1, v1, v10, v8
	v_div_fixup_f32 v4, v1, v7, v4
	v_mov_b32_e32 v1, 0
	global_store_dwordx2 v[2:3], v[4:5], off
.LBB0_280:                              ;   in Loop: Header=BB0_15 Depth=1
	s_or_b64 exec, exec, s[10:11]
	s_movk_i32 s8, 0x47
	v_cmp_gt_i32_e32 vcc, s8, v1
	s_mov_b64 s[10:11], -1
	s_and_saveexec_b64 s[14:15], vcc
; %bb.281:                              ;   in Loop: Header=BB0_15 Depth=1
	v_cmp_eq_u32_e32 vcc, 0, v1
	s_orn2_b64 s[10:11], vcc, exec
; %bb.282:                              ;   in Loop: Header=BB0_15 Depth=1
	s_or_b64 exec, exec, s[14:15]
	s_and_b64 exec, exec, s[10:11]
	s_cbranch_execz .LBB0_13
; %bb.283:                              ;   in Loop: Header=BB0_15 Depth=1
	v_accvgpr_read_b32 v1, a44
	v_accvgpr_read_b32 v4, a46
	v_add_u32_e32 v2, s78, v1
	v_or_b32_e32 v1, s61, v4
	v_cmp_gt_i32_e32 vcc, s36, v2
	v_cmp_gt_i32_e64 s[10:11], s33, v1
	s_and_b64 s[8:9], vcc, s[10:11]
	v_mov_b32_e32 v1, 0x47
	s_and_saveexec_b64 s[10:11], s[8:9]
	s_cbranch_execz .LBB0_285
; %bb.284:                              ;   in Loop: Header=BB0_15 Depth=1
	v_accvgpr_read_b32 v4, a46
	v_mad_u64_u32 v[2:3], s[8:9], v2, s37, v[4:5]
	v_accvgpr_read_b32 v1, a45
	v_accvgpr_read_b32 v3, a47
	v_add_u32_e32 v1, 0, v1
	ds_read2st64_b32 v[4:5], v3 offset1:17
	ds_read2_b32 v[6:7], v1 offset0:64 offset1:65
	ds_read_b32 v8, v1 offset:4608
	v_lshl_add_u32 v2, v2, 6, v30
	v_ashrrev_i32_e32 v3, 31, v2
	s_waitcnt lgkmcnt(2)
	v_cvt_f32_f16_sdwa v11, v4 dst_sel:DWORD dst_unused:UNUSED_PAD src0_sel:WORD_1
	v_cvt_f32_f16_e32 v10, v4
	v_cvt_f32_f16_sdwa v13, v5 dst_sel:DWORD dst_unused:UNUSED_PAD src0_sel:WORD_1
	v_cvt_f32_f16_e32 v12, v5
	v_lshlrev_b64 v[2:3], 3, v[2:3]
	s_waitcnt lgkmcnt(1)
	v_pk_fma_f32 v[4:5], v[6:7], v[10:11], 0 op_sel_hi:[0,1,0]
	v_mov_b32_e32 v1, s89
	s_waitcnt lgkmcnt(0)
	v_pk_fma_f32 v[4:5], v[8:9], v[12:13], v[4:5] op_sel_hi:[0,1,1]
	v_div_scale_f32 v6, s[8:9], v7, v7, v5
	v_rcp_f32_e32 v8, v6
	v_add_co_u32_e32 v2, vcc, s53, v2
	v_addc_co_u32_e32 v3, vcc, v1, v3, vcc
	v_fma_f32 v1, -v6, v8, 1.0
	v_fmac_f32_e32 v8, v1, v8
	v_div_scale_f32 v1, vcc, v5, v7, v5
	v_mul_f32_e32 v9, v1, v8
	v_fma_f32 v10, -v6, v9, v1
	v_fmac_f32_e32 v9, v10, v8
	v_fma_f32 v1, -v6, v9, v1
	v_div_scale_f32 v6, s[8:9], v7, v7, v4
	v_rcp_f32_e32 v10, v6
	v_div_fmas_f32 v1, v1, v8, v9
	v_div_fixup_f32 v5, v1, v7, v5
	v_fma_f32 v1, -v6, v10, 1.0
	v_fmac_f32_e32 v10, v1, v10
	v_div_scale_f32 v1, vcc, v4, v7, v4
	v_mul_f32_e32 v8, v1, v10
	v_fma_f32 v9, -v6, v8, v1
	v_fmac_f32_e32 v8, v9, v10
	v_fma_f32 v1, -v6, v8, v1
	v_div_fmas_f32 v1, v1, v10, v8
	v_div_fixup_f32 v4, v1, v7, v4
	v_mov_b32_e32 v1, 0
	global_store_dwordx2 v[2:3], v[4:5], off
.LBB0_285:                              ;   in Loop: Header=BB0_15 Depth=1
	s_or_b64 exec, exec, s[10:11]
	s_movk_i32 s8, 0x47
	v_cmp_gt_i32_e32 vcc, s8, v1
	s_mov_b64 s[10:11], -1
	s_and_saveexec_b64 s[14:15], vcc
; %bb.286:                              ;   in Loop: Header=BB0_15 Depth=1
	v_cmp_eq_u32_e32 vcc, 0, v1
	s_orn2_b64 s[10:11], vcc, exec
; %bb.287:                              ;   in Loop: Header=BB0_15 Depth=1
	s_or_b64 exec, exec, s[14:15]
	s_and_b64 exec, exec, s[10:11]
	s_cbranch_execz .LBB0_13
; %bb.288:                              ;   in Loop: Header=BB0_15 Depth=1
	v_accvgpr_read_b32 v1, a48
	v_accvgpr_read_b32 v4, a50
	v_add_u32_e32 v2, s78, v1
	v_or_b32_e32 v1, s61, v4
	v_cmp_gt_i32_e32 vcc, s36, v2
	v_cmp_gt_i32_e64 s[10:11], s33, v1
	s_and_b64 s[8:9], vcc, s[10:11]
	v_mov_b32_e32 v1, 0x47
	s_and_saveexec_b64 s[10:11], s[8:9]
	s_cbranch_execz .LBB0_290
; %bb.289:                              ;   in Loop: Header=BB0_15 Depth=1
	v_accvgpr_read_b32 v4, a50
	v_mad_u64_u32 v[2:3], s[8:9], v2, s37, v[4:5]
	v_accvgpr_read_b32 v1, a49
	v_accvgpr_read_b32 v3, a51
	v_add_u32_e32 v1, 0, v1
	ds_read2st64_b32 v[4:5], v3 offset1:17
	ds_read2_b32 v[6:7], v1 offset0:64 offset1:65
	ds_read_b32 v8, v1 offset:4608
	v_lshl_add_u32 v2, v2, 6, v30
	v_ashrrev_i32_e32 v3, 31, v2
	s_waitcnt lgkmcnt(2)
	v_cvt_f32_f16_sdwa v11, v4 dst_sel:DWORD dst_unused:UNUSED_PAD src0_sel:WORD_1
	v_cvt_f32_f16_e32 v10, v4
	v_cvt_f32_f16_sdwa v13, v5 dst_sel:DWORD dst_unused:UNUSED_PAD src0_sel:WORD_1
	v_cvt_f32_f16_e32 v12, v5
	v_lshlrev_b64 v[2:3], 3, v[2:3]
	s_waitcnt lgkmcnt(1)
	v_pk_fma_f32 v[4:5], v[6:7], v[10:11], 0 op_sel_hi:[0,1,0]
	v_mov_b32_e32 v1, s89
	s_waitcnt lgkmcnt(0)
	v_pk_fma_f32 v[4:5], v[8:9], v[12:13], v[4:5] op_sel_hi:[0,1,1]
	v_div_scale_f32 v6, s[8:9], v7, v7, v5
	v_rcp_f32_e32 v8, v6
	v_add_co_u32_e32 v2, vcc, s53, v2
	v_addc_co_u32_e32 v3, vcc, v1, v3, vcc
	v_fma_f32 v1, -v6, v8, 1.0
	v_fmac_f32_e32 v8, v1, v8
	v_div_scale_f32 v1, vcc, v5, v7, v5
	v_mul_f32_e32 v9, v1, v8
	v_fma_f32 v10, -v6, v9, v1
	v_fmac_f32_e32 v9, v10, v8
	v_fma_f32 v1, -v6, v9, v1
	v_div_scale_f32 v6, s[8:9], v7, v7, v4
	v_rcp_f32_e32 v10, v6
	v_div_fmas_f32 v1, v1, v8, v9
	v_div_fixup_f32 v5, v1, v7, v5
	v_fma_f32 v1, -v6, v10, 1.0
	v_fmac_f32_e32 v10, v1, v10
	v_div_scale_f32 v1, vcc, v4, v7, v4
	v_mul_f32_e32 v8, v1, v10
	v_fma_f32 v9, -v6, v8, v1
	v_fmac_f32_e32 v8, v9, v10
	v_fma_f32 v1, -v6, v8, v1
	v_div_fmas_f32 v1, v1, v10, v8
	v_div_fixup_f32 v4, v1, v7, v4
	v_mov_b32_e32 v1, 0
	global_store_dwordx2 v[2:3], v[4:5], off
.LBB0_290:                              ;   in Loop: Header=BB0_15 Depth=1
	s_or_b64 exec, exec, s[10:11]
	s_movk_i32 s8, 0x47
	v_cmp_gt_i32_e32 vcc, s8, v1
	s_mov_b64 s[10:11], -1
	s_and_saveexec_b64 s[14:15], vcc
; %bb.291:                              ;   in Loop: Header=BB0_15 Depth=1
	v_cmp_eq_u32_e32 vcc, 0, v1
	s_orn2_b64 s[10:11], vcc, exec
; %bb.292:                              ;   in Loop: Header=BB0_15 Depth=1
	s_or_b64 exec, exec, s[14:15]
	s_and_b64 exec, exec, s[10:11]
	s_cbranch_execz .LBB0_13
; %bb.293:                              ;   in Loop: Header=BB0_15 Depth=1
	v_accvgpr_read_b32 v1, a52
	v_accvgpr_read_b32 v4, a54
	v_add_u32_e32 v2, s78, v1
	v_or_b32_e32 v1, s61, v4
	v_cmp_gt_i32_e32 vcc, s36, v2
	v_cmp_gt_i32_e64 s[10:11], s33, v1
	s_and_b64 s[8:9], vcc, s[10:11]
	v_mov_b32_e32 v1, 0x47
	s_and_saveexec_b64 s[10:11], s[8:9]
	s_cbranch_execz .LBB0_295
; %bb.294:                              ;   in Loop: Header=BB0_15 Depth=1
	v_accvgpr_read_b32 v4, a54
	v_mad_u64_u32 v[2:3], s[8:9], v2, s37, v[4:5]
	v_accvgpr_read_b32 v1, a53
	v_accvgpr_read_b32 v3, a55
	v_add_u32_e32 v1, 0, v1
	ds_read2st64_b32 v[4:5], v3 offset1:17
	ds_read2_b32 v[6:7], v1 offset0:64 offset1:65
	ds_read_b32 v8, v1 offset:4608
	v_lshl_add_u32 v2, v2, 6, v30
	v_ashrrev_i32_e32 v3, 31, v2
	s_waitcnt lgkmcnt(2)
	v_cvt_f32_f16_sdwa v11, v4 dst_sel:DWORD dst_unused:UNUSED_PAD src0_sel:WORD_1
	v_cvt_f32_f16_e32 v10, v4
	v_cvt_f32_f16_sdwa v13, v5 dst_sel:DWORD dst_unused:UNUSED_PAD src0_sel:WORD_1
	v_cvt_f32_f16_e32 v12, v5
	v_lshlrev_b64 v[2:3], 3, v[2:3]
	s_waitcnt lgkmcnt(1)
	v_pk_fma_f32 v[4:5], v[6:7], v[10:11], 0 op_sel_hi:[0,1,0]
	v_mov_b32_e32 v1, s89
	s_waitcnt lgkmcnt(0)
	v_pk_fma_f32 v[4:5], v[8:9], v[12:13], v[4:5] op_sel_hi:[0,1,1]
	v_div_scale_f32 v6, s[8:9], v7, v7, v5
	v_rcp_f32_e32 v8, v6
	v_add_co_u32_e32 v2, vcc, s53, v2
	v_addc_co_u32_e32 v3, vcc, v1, v3, vcc
	v_fma_f32 v1, -v6, v8, 1.0
	v_fmac_f32_e32 v8, v1, v8
	v_div_scale_f32 v1, vcc, v5, v7, v5
	v_mul_f32_e32 v9, v1, v8
	v_fma_f32 v10, -v6, v9, v1
	v_fmac_f32_e32 v9, v10, v8
	v_fma_f32 v1, -v6, v9, v1
	v_div_scale_f32 v6, s[8:9], v7, v7, v4
	v_rcp_f32_e32 v10, v6
	v_div_fmas_f32 v1, v1, v8, v9
	v_div_fixup_f32 v5, v1, v7, v5
	v_fma_f32 v1, -v6, v10, 1.0
	v_fmac_f32_e32 v10, v1, v10
	v_div_scale_f32 v1, vcc, v4, v7, v4
	v_mul_f32_e32 v8, v1, v10
	v_fma_f32 v9, -v6, v8, v1
	v_fmac_f32_e32 v8, v9, v10
	v_fma_f32 v1, -v6, v8, v1
	v_div_fmas_f32 v1, v1, v10, v8
	v_div_fixup_f32 v4, v1, v7, v4
	v_mov_b32_e32 v1, 0
	global_store_dwordx2 v[2:3], v[4:5], off
.LBB0_295:                              ;   in Loop: Header=BB0_15 Depth=1
	s_or_b64 exec, exec, s[10:11]
	s_movk_i32 s8, 0x47
	v_cmp_gt_i32_e32 vcc, s8, v1
	s_mov_b64 s[10:11], -1
	s_and_saveexec_b64 s[14:15], vcc
; %bb.296:                              ;   in Loop: Header=BB0_15 Depth=1
	v_cmp_eq_u32_e32 vcc, 0, v1
	s_orn2_b64 s[10:11], vcc, exec
; %bb.297:                              ;   in Loop: Header=BB0_15 Depth=1
	s_or_b64 exec, exec, s[14:15]
	s_and_b64 exec, exec, s[10:11]
	s_cbranch_execz .LBB0_13
; %bb.298:                              ;   in Loop: Header=BB0_15 Depth=1
	v_accvgpr_read_b32 v1, a56
	v_accvgpr_read_b32 v4, a58
	v_add_u32_e32 v2, s78, v1
	v_or_b32_e32 v1, s61, v4
	v_cmp_gt_i32_e32 vcc, s36, v2
	v_cmp_gt_i32_e64 s[10:11], s33, v1
	s_and_b64 s[8:9], vcc, s[10:11]
	v_mov_b32_e32 v1, 0x47
	s_and_saveexec_b64 s[10:11], s[8:9]
	s_cbranch_execz .LBB0_300
; %bb.299:                              ;   in Loop: Header=BB0_15 Depth=1
	v_accvgpr_read_b32 v4, a58
	v_mad_u64_u32 v[2:3], s[8:9], v2, s37, v[4:5]
	v_accvgpr_read_b32 v1, a57
	v_accvgpr_read_b32 v3, a59
	v_add_u32_e32 v1, 0, v1
	ds_read2st64_b32 v[4:5], v3 offset1:17
	ds_read2_b32 v[6:7], v1 offset0:64 offset1:65
	ds_read_b32 v8, v1 offset:4608
	v_lshl_add_u32 v2, v2, 6, v30
	v_ashrrev_i32_e32 v3, 31, v2
	s_waitcnt lgkmcnt(2)
	v_cvt_f32_f16_sdwa v11, v4 dst_sel:DWORD dst_unused:UNUSED_PAD src0_sel:WORD_1
	v_cvt_f32_f16_e32 v10, v4
	v_cvt_f32_f16_sdwa v13, v5 dst_sel:DWORD dst_unused:UNUSED_PAD src0_sel:WORD_1
	v_cvt_f32_f16_e32 v12, v5
	v_lshlrev_b64 v[2:3], 3, v[2:3]
	s_waitcnt lgkmcnt(1)
	v_pk_fma_f32 v[4:5], v[6:7], v[10:11], 0 op_sel_hi:[0,1,0]
	v_mov_b32_e32 v1, s89
	s_waitcnt lgkmcnt(0)
	v_pk_fma_f32 v[4:5], v[8:9], v[12:13], v[4:5] op_sel_hi:[0,1,1]
	v_div_scale_f32 v6, s[8:9], v7, v7, v5
	v_rcp_f32_e32 v8, v6
	v_add_co_u32_e32 v2, vcc, s53, v2
	v_addc_co_u32_e32 v3, vcc, v1, v3, vcc
	v_fma_f32 v1, -v6, v8, 1.0
	v_fmac_f32_e32 v8, v1, v8
	v_div_scale_f32 v1, vcc, v5, v7, v5
	v_mul_f32_e32 v9, v1, v8
	v_fma_f32 v10, -v6, v9, v1
	v_fmac_f32_e32 v9, v10, v8
	v_fma_f32 v1, -v6, v9, v1
	v_div_scale_f32 v6, s[8:9], v7, v7, v4
	v_rcp_f32_e32 v10, v6
	v_div_fmas_f32 v1, v1, v8, v9
	v_div_fixup_f32 v5, v1, v7, v5
	v_fma_f32 v1, -v6, v10, 1.0
	v_fmac_f32_e32 v10, v1, v10
	v_div_scale_f32 v1, vcc, v4, v7, v4
	v_mul_f32_e32 v8, v1, v10
	v_fma_f32 v9, -v6, v8, v1
	v_fmac_f32_e32 v8, v9, v10
	v_fma_f32 v1, -v6, v8, v1
	v_div_fmas_f32 v1, v1, v10, v8
	v_div_fixup_f32 v4, v1, v7, v4
	v_mov_b32_e32 v1, 0
	global_store_dwordx2 v[2:3], v[4:5], off
.LBB0_300:                              ;   in Loop: Header=BB0_15 Depth=1
	s_or_b64 exec, exec, s[10:11]
	s_movk_i32 s8, 0x47
	v_cmp_gt_i32_e32 vcc, s8, v1
	s_mov_b64 s[10:11], -1
	s_and_saveexec_b64 s[14:15], vcc
; %bb.301:                              ;   in Loop: Header=BB0_15 Depth=1
	v_cmp_eq_u32_e32 vcc, 0, v1
	s_orn2_b64 s[10:11], vcc, exec
; %bb.302:                              ;   in Loop: Header=BB0_15 Depth=1
	s_or_b64 exec, exec, s[14:15]
	s_and_b64 exec, exec, s[10:11]
	s_cbranch_execz .LBB0_13
; %bb.303:                              ;   in Loop: Header=BB0_15 Depth=1
	v_accvgpr_read_b32 v1, a60
	v_accvgpr_read_b32 v4, a62
	v_add_u32_e32 v2, s78, v1
	v_or_b32_e32 v1, s61, v4
	v_cmp_gt_i32_e32 vcc, s36, v2
	v_cmp_gt_i32_e64 s[10:11], s33, v1
	s_and_b64 s[8:9], vcc, s[10:11]
	v_mov_b32_e32 v1, 0x47
	s_and_saveexec_b64 s[10:11], s[8:9]
	s_cbranch_execz .LBB0_305
; %bb.304:                              ;   in Loop: Header=BB0_15 Depth=1
	v_accvgpr_read_b32 v4, a62
	v_mad_u64_u32 v[2:3], s[8:9], v2, s37, v[4:5]
	v_accvgpr_read_b32 v1, a61
	v_accvgpr_read_b32 v3, a63
	v_add_u32_e32 v1, 0, v1
	ds_read2st64_b32 v[4:5], v3 offset1:17
	ds_read2_b32 v[6:7], v1 offset0:64 offset1:65
	ds_read_b32 v8, v1 offset:4608
	v_lshl_add_u32 v2, v2, 6, v30
	v_ashrrev_i32_e32 v3, 31, v2
	s_waitcnt lgkmcnt(2)
	v_cvt_f32_f16_sdwa v11, v4 dst_sel:DWORD dst_unused:UNUSED_PAD src0_sel:WORD_1
	v_cvt_f32_f16_e32 v10, v4
	v_cvt_f32_f16_sdwa v13, v5 dst_sel:DWORD dst_unused:UNUSED_PAD src0_sel:WORD_1
	v_cvt_f32_f16_e32 v12, v5
	v_lshlrev_b64 v[2:3], 3, v[2:3]
	s_waitcnt lgkmcnt(1)
	v_pk_fma_f32 v[4:5], v[6:7], v[10:11], 0 op_sel_hi:[0,1,0]
	v_mov_b32_e32 v1, s89
	s_waitcnt lgkmcnt(0)
	v_pk_fma_f32 v[4:5], v[8:9], v[12:13], v[4:5] op_sel_hi:[0,1,1]
	v_div_scale_f32 v6, s[8:9], v7, v7, v5
	v_rcp_f32_e32 v8, v6
	v_add_co_u32_e32 v2, vcc, s53, v2
	v_addc_co_u32_e32 v3, vcc, v1, v3, vcc
	v_fma_f32 v1, -v6, v8, 1.0
	v_fmac_f32_e32 v8, v1, v8
	v_div_scale_f32 v1, vcc, v5, v7, v5
	v_mul_f32_e32 v9, v1, v8
	v_fma_f32 v10, -v6, v9, v1
	v_fmac_f32_e32 v9, v10, v8
	v_fma_f32 v1, -v6, v9, v1
	v_div_scale_f32 v6, s[8:9], v7, v7, v4
	v_rcp_f32_e32 v10, v6
	v_div_fmas_f32 v1, v1, v8, v9
	v_div_fixup_f32 v5, v1, v7, v5
	v_fma_f32 v1, -v6, v10, 1.0
	v_fmac_f32_e32 v10, v1, v10
	v_div_scale_f32 v1, vcc, v4, v7, v4
	v_mul_f32_e32 v8, v1, v10
	v_fma_f32 v9, -v6, v8, v1
	v_fmac_f32_e32 v8, v9, v10
	v_fma_f32 v1, -v6, v8, v1
	v_div_fmas_f32 v1, v1, v10, v8
	v_div_fixup_f32 v4, v1, v7, v4
	v_mov_b32_e32 v1, 0
	global_store_dwordx2 v[2:3], v[4:5], off
.LBB0_305:                              ;   in Loop: Header=BB0_15 Depth=1
	s_or_b64 exec, exec, s[10:11]
	s_movk_i32 s8, 0x47
	v_cmp_gt_i32_e32 vcc, s8, v1
	s_mov_b64 s[10:11], -1
	s_and_saveexec_b64 s[14:15], vcc
; %bb.306:                              ;   in Loop: Header=BB0_15 Depth=1
	v_cmp_eq_u32_e32 vcc, 0, v1
	s_orn2_b64 s[10:11], vcc, exec
; %bb.307:                              ;   in Loop: Header=BB0_15 Depth=1
	s_or_b64 exec, exec, s[14:15]
	s_and_b64 exec, exec, s[10:11]
	s_cbranch_execz .LBB0_13
; %bb.308:                              ;   in Loop: Header=BB0_15 Depth=1
	v_accvgpr_read_b32 v1, a64
	v_accvgpr_read_b32 v2, a66
	v_add_u32_e32 v1, s78, v1
	v_or_b32_e32 v2, s61, v2
	v_cmp_gt_i32_e32 vcc, s36, v1
	v_cmp_gt_i32_e64 s[10:11], s33, v2
	s_and_b64 s[8:9], vcc, s[10:11]
	s_and_b64 exec, exec, s[8:9]
	s_cbranch_execz .LBB0_13
; %bb.309:                              ;   in Loop: Header=BB0_15 Depth=1
	v_accvgpr_read_b32 v2, a65
	v_add_u32_e32 v8, 0, v2
	v_accvgpr_read_b32 v2, a66
	v_mad_u64_u32 v[2:3], s[8:9], v1, s37, v[2:3]
	v_accvgpr_read_b32 v1, a67
	ds_read2st64_b32 v[4:5], v1 offset1:17
	ds_read2_b32 v[6:7], v8 offset0:64 offset1:65
	ds_read_b32 v8, v8 offset:4608
	v_lshl_add_u32 v2, v2, 6, v30
	v_ashrrev_i32_e32 v3, 31, v2
	s_waitcnt lgkmcnt(2)
	v_cvt_f32_f16_sdwa v11, v4 dst_sel:DWORD dst_unused:UNUSED_PAD src0_sel:WORD_1
	v_cvt_f32_f16_e32 v10, v4
	v_cvt_f32_f16_sdwa v13, v5 dst_sel:DWORD dst_unused:UNUSED_PAD src0_sel:WORD_1
	v_cvt_f32_f16_e32 v12, v5
	v_lshlrev_b64 v[2:3], 3, v[2:3]
	s_waitcnt lgkmcnt(1)
	v_pk_fma_f32 v[4:5], v[6:7], v[10:11], 0 op_sel_hi:[0,1,0]
	v_mov_b32_e32 v1, s89
	s_waitcnt lgkmcnt(0)
	v_pk_fma_f32 v[4:5], v[8:9], v[12:13], v[4:5] op_sel_hi:[0,1,1]
	v_div_scale_f32 v6, s[8:9], v7, v7, v5
	v_rcp_f32_e32 v8, v6
	v_add_co_u32_e32 v2, vcc, s53, v2
	v_addc_co_u32_e32 v3, vcc, v1, v3, vcc
	v_fma_f32 v1, -v6, v8, 1.0
	v_fmac_f32_e32 v8, v1, v8
	v_div_scale_f32 v1, vcc, v5, v7, v5
	v_mul_f32_e32 v9, v1, v8
	v_fma_f32 v10, -v6, v9, v1
	v_fmac_f32_e32 v9, v10, v8
	v_fma_f32 v1, -v6, v9, v1
	v_div_scale_f32 v6, s[8:9], v7, v7, v4
	v_rcp_f32_e32 v10, v6
	v_div_fmas_f32 v1, v1, v8, v9
	v_div_fixup_f32 v5, v1, v7, v5
	v_fma_f32 v1, -v6, v10, 1.0
	v_fmac_f32_e32 v10, v1, v10
	v_div_scale_f32 v1, vcc, v4, v7, v4
	v_mul_f32_e32 v8, v1, v10
	v_fma_f32 v9, -v6, v8, v1
	v_fmac_f32_e32 v8, v9, v10
	v_fma_f32 v1, -v6, v8, v1
	v_div_fmas_f32 v1, v1, v10, v8
	v_div_fixup_f32 v4, v1, v7, v4
	global_store_dwordx2 v[2:3], v[4:5], off
	s_branch .LBB0_13
.LBB0_310:
	v_readlane_b32 s44, v255, 13
	v_readlane_b32 s35, v255, 8
	;; [unrolled: 1-line block ×5, first 2 shown]
	v_accvgpr_read_b32 v202, a8
	v_accvgpr_read_b32 v200, a9
	v_readlane_b32 s47, v255, 22
	v_readlane_b32 s13, v255, 15
	s_andn2_b64 vcc, exec, s[10:11]
	s_cbranch_vccnz .LBB0_11
.LBB0_311:
	v_readlane_b32 s6, v255, 3
	s_abs_i32 s0, s6
	v_cvt_f32_u32_e32 v1, s0
	s_sub_i32 s3, 0, s0
	s_abs_i32 s2, s56
	s_xor_b32 s1, s56, s6
	v_rcp_iflag_f32_e32 v1, v1
	s_ashr_i32 s1, s1, 31
	v_readlane_b32 s8, v255, 2
	v_readlane_b32 s9, v255, 1
	v_mul_f32_e32 v1, 0x4f7ffffe, v1
	v_cvt_u32_f32_e32 v1, v1
	v_mov_b32_e32 v24, s80
	v_readfirstlane_b32 s4, v1
	s_mul_i32 s3, s3, s4
	s_mul_hi_u32 s3, s4, s3
	s_add_i32 s4, s4, s3
	s_mul_hi_u32 s3, s2, s4
	s_mul_i32 s4, s3, s0
	s_sub_i32 s2, s2, s4
	s_add_i32 s5, s3, 1
	s_sub_i32 s4, s2, s0
	s_cmp_ge_u32 s2, s0
	s_cselect_b32 s3, s5, s3
	s_cselect_b32 s2, s4, s2
	s_add_i32 s4, s3, 1
	s_cmp_ge_u32 s2, s0
	s_cselect_b32 s0, s4, s3
	s_abs_i32 s2, s8
	v_cvt_f32_u32_e32 v1, s2
	s_xor_b32 s0, s0, s1
	s_sub_i32 s4, s0, s1
	s_sub_i32 s3, 0, s2
	v_rcp_iflag_f32_e32 v1, v1
	s_mul_i32 s0, s4, s6
	s_sub_i32 s0, s56, s0
	s_abs_i32 s5, s0
	v_mul_f32_e32 v1, 0x4f7ffffe, v1
	v_cvt_u32_f32_e32 v1, v1
	s_xor_b32 s1, s0, s8
	s_ashr_i32 s1, s1, 31
	v_readfirstlane_b32 s6, v1
	s_mul_i32 s3, s3, s6
	s_mul_hi_u32 s3, s6, s3
	s_add_i32 s6, s6, s3
	s_mul_hi_u32 s3, s5, s6
	s_mul_i32 s6, s3, s2
	s_sub_i32 s5, s5, s6
	s_add_i32 s7, s3, 1
	s_sub_i32 s6, s5, s2
	s_cmp_ge_u32 s5, s2
	s_cselect_b32 s3, s7, s3
	s_cselect_b32 s5, s6, s5
	s_add_i32 s6, s3, 1
	s_cmp_ge_u32 s5, s2
	s_cselect_b32 s2, s6, s3
	s_abs_i32 s3, s9
	v_cvt_f32_u32_e32 v1, s3
	s_xor_b32 s2, s2, s1
	s_sub_i32 s6, 0, s3
	s_sub_i32 s5, s2, s1
	v_rcp_iflag_f32_e32 v1, v1
	s_mul_i32 s1, s5, s8
	s_sub_i32 s1, s0, s1
	s_abs_i32 s2, s1
	v_mul_f32_e32 v1, 0x4f7ffffe, v1
	v_cvt_u32_f32_e32 v1, v1
	s_xor_b32 s0, s1, s9
	s_ashr_i32 s0, s0, 31
	v_readfirstlane_b32 s7, v1
	s_mul_i32 s6, s6, s7
	s_mul_hi_u32 s6, s7, s6
	s_add_i32 s7, s7, s6
	s_mul_hi_u32 s6, s2, s7
	s_mul_i32 s7, s6, s3
	s_sub_i32 s2, s2, s7
	s_add_i32 s8, s6, 1
	s_sub_i32 s7, s2, s3
	s_cmp_ge_u32 s2, s3
	s_cselect_b32 s6, s8, s6
	s_cselect_b32 s2, s7, s2
	s_add_i32 s7, s6, 1
	s_cmp_ge_u32 s2, s3
	s_cselect_b32 s2, s7, s6
	s_xor_b32 s2, s2, s0
	s_sub_i32 s0, s2, s0
	s_mul_i32 s2, s0, s9
	s_sub_i32 s1, s1, s2
	s_ashr_i32 s2, s1, 31
	s_abs_i32 s1, s1
	s_mul_hi_u32 s3, s1, s52
	s_mul_i32 s6, s3, s85
	s_sub_i32 s1, s1, s6
	s_xor_b32 s2, s2, s42
	s_add_i32 s6, s3, 1
	s_sub_i32 s7, s1, s85
	s_cmp_ge_u32 s1, s85
	s_cselect_b32 s3, s6, s3
	s_cselect_b32 s1, s7, s1
	s_add_i32 s6, s3, 1
	s_cmp_ge_u32 s1, s85
	s_cselect_b32 s1, s6, s3
	s_abs_i32 s7, s12
	v_cvt_f32_u32_e32 v1, s7
	s_xor_b32 s1, s1, s2
	s_sub_i32 s6, s1, s2
	s_cmp_eq_u64 s[26:27], 0
	v_rcp_iflag_f32_e32 v1, v1
	v_mul_f32_e32 v1, 0x4f7ffffe, v1
	v_cvt_u32_f32_e32 v1, v1
	v_readfirstlane_b32 s11, v1
	s_cbranch_scc1 .LBB0_313
; %bb.312:
	v_readlane_b32 s1, v255, 0
	s_mul_i32 s1, s4, s1
	s_add_i32 s2, s6, s1
	s_ashr_i32 s3, s2, 31
	s_lshl_b64 s[2:3], s[2:3], 2
	s_add_u32 s2, s26, s2
	s_addc_u32 s3, s27, s3
	v_mov_b32_e32 v1, 0
	global_load_dword v1, v1, s[2:3]
	s_waitcnt vmcnt(0)
	v_ashrrev_i32_e32 v2, 31, v1
	v_lshrrev_b32_e32 v2, 26, v2
	v_add_u32_e32 v1, v1, v2
	v_ashrrev_i32_e32 v1, 6, v1
	v_min_i32_e32 v24, s80, v1
.LBB0_313:
	s_mul_i32 s1, s5, s33
	s_lshl_b32 s10, s0, 4
	s_add_i32 s0, s10, s1
	s_mul_i32 s1, s4, s55
	s_ashr_i32 s2, s1, 31
	s_add_u32 s1, s16, s1
	s_mul_i32 s0, s0, s54
	s_addc_u32 s2, s17, s2
	s_ashr_i32 s3, s0, 31
	s_add_u32 s8, s1, s0
	s_addc_u32 s9, s2, s3
	s_lshl_b32 s12, s6, 1
	v_or_b32_e32 v1, s10, v71
	v_and_b32_e32 v54, 0x3ff, v0
	v_add_u32_e32 v0, s12, v79
	v_cmp_gt_i32_e64 s[0:1], s33, v1
	v_cmp_le_i32_e32 vcc, s36, v0
	s_xor_b64 s[2:3], s[0:1], -1
	s_or_b64 s[0:1], vcc, s[2:3]
	s_and_saveexec_b64 s[14:15], s[0:1]
	s_xor_b64 s[0:1], exec, s[14:15]
	s_cbranch_execz .LBB0_315
; %bb.314:
	s_movk_i32 s13, 0x64
	v_mad_u32_u24 v0, v57, s13, v54
	v_lshl_add_u32 v0, v0, 2, 0
	v_mov_b32_e32 v1, 0
	ds_write_b32 v0, v1
                                        ; implicit-def: $vgpr0
.LBB0_315:
	s_andn2_saveexec_b64 s[0:1], s[0:1]
	s_cbranch_execz .LBB0_317
; %bb.316:
	v_mul_lo_u32 v0, v0, s57
	v_mul_lo_u32 v1, v71, s45
	v_add3_u32 v0, v1, v54, v0
	v_ashrrev_i32_e32 v1, 31, v0
	v_lshlrev_b64 v[0:1], 3, v[0:1]
	v_mov_b32_e32 v2, s9
	v_add_co_u32_e32 v0, vcc, s8, v0
	v_addc_co_u32_e32 v1, vcc, v2, v1, vcc
	global_load_dwordx2 v[0:1], v[0:1], off
	s_movk_i32 s13, 0x64
	v_mad_u32_u24 v2, v57, s13, v54
	s_waitcnt vmcnt(0)
	v_cvt_f16_f32_e32 v0, v0
	v_cvt_f16_f32_e32 v1, v1
	v_pack_b32_f16 v0, v0, v1
	v_pk_mul_f16 v0, v51, v0
	v_lshl_add_u32 v1, v2, 2, 0
	ds_write_b32 v1, v0
.LBB0_317:
	s_or_b64 exec, exec, s[0:1]
	v_lshrrev_b32_e32 v1, 4, v77
	v_and_b32_e32 v0, 15, v77
	v_add_u32_e32 v1, s12, v1
	v_or_b32_e32 v2, s10, v0
	v_cmp_le_i32_e32 vcc, s36, v1
	v_cmp_le_i32_e64 s[0:1], s33, v2
	s_or_b64 s[0:1], vcc, s[0:1]
	s_and_saveexec_b64 s[14:15], s[0:1]
	s_xor_b64 s[0:1], exec, s[14:15]
	s_cbranch_execz .LBB0_319
; %bb.318:
	s_movk_i32 s13, 0x64
	v_mad_u32_u24 v0, v77, s13, v54
	v_lshl_add_u32 v0, v0, 2, 0
	v_mov_b32_e32 v1, 0
	ds_write_b32 v0, v1
                                        ; implicit-def: $vgpr1
                                        ; implicit-def: $vgpr0
                                        ; implicit-def: $vgpr77
.LBB0_319:
	s_andn2_saveexec_b64 s[0:1], s[0:1]
	s_cbranch_execz .LBB0_321
; %bb.320:
	v_mul_lo_u32 v1, v1, s57
	v_mul_lo_u32 v0, v0, s45
	v_add3_u32 v0, v0, v54, v1
	v_ashrrev_i32_e32 v1, 31, v0
	v_lshlrev_b64 v[0:1], 3, v[0:1]
	v_mov_b32_e32 v2, s9
	v_add_co_u32_e32 v0, vcc, s8, v0
	v_addc_co_u32_e32 v1, vcc, v2, v1, vcc
	global_load_dwordx2 v[0:1], v[0:1], off
	s_movk_i32 s13, 0x64
	v_mad_u32_u24 v2, v77, s13, v54
	s_waitcnt vmcnt(0)
	v_cvt_f16_f32_e32 v0, v0
	v_cvt_f16_f32_e32 v1, v1
	v_pack_b32_f16 v0, v0, v1
	v_pk_mul_f16 v0, v51, v0
	v_lshl_add_u32 v1, v2, 2, 0
	ds_write_b32 v1, v0
.LBB0_321:
	s_or_b64 exec, exec, s[0:1]
	v_lshrrev_b32_e32 v1, 4, v75
	v_and_b32_e32 v0, 15, v75
	v_add_u32_e32 v1, s12, v1
	v_or_b32_e32 v2, s10, v0
	v_cmp_le_i32_e32 vcc, s36, v1
	v_cmp_le_i32_e64 s[0:1], s33, v2
	s_or_b64 s[0:1], vcc, s[0:1]
	s_and_saveexec_b64 s[14:15], s[0:1]
	s_xor_b64 s[0:1], exec, s[14:15]
	s_cbranch_execz .LBB0_323
; %bb.322:
	s_movk_i32 s13, 0x64
	v_mad_u32_u24 v0, v75, s13, v54
	v_lshl_add_u32 v0, v0, 2, 0
	v_mov_b32_e32 v1, 0
	ds_write_b32 v0, v1
                                        ; implicit-def: $vgpr1
                                        ; implicit-def: $vgpr0
                                        ; implicit-def: $vgpr75
.LBB0_323:
	s_andn2_saveexec_b64 s[0:1], s[0:1]
	s_cbranch_execz .LBB0_325
; %bb.324:
	v_mul_lo_u32 v1, v1, s57
	v_mul_lo_u32 v0, v0, s45
	v_add3_u32 v0, v0, v54, v1
	v_ashrrev_i32_e32 v1, 31, v0
	v_lshlrev_b64 v[0:1], 3, v[0:1]
	v_mov_b32_e32 v2, s9
	v_add_co_u32_e32 v0, vcc, s8, v0
	v_addc_co_u32_e32 v1, vcc, v2, v1, vcc
	global_load_dwordx2 v[0:1], v[0:1], off
	s_movk_i32 s13, 0x64
	v_mad_u32_u24 v2, v75, s13, v54
	s_waitcnt vmcnt(0)
	v_cvt_f16_f32_e32 v0, v0
	v_cvt_f16_f32_e32 v1, v1
	v_pack_b32_f16 v0, v0, v1
	v_pk_mul_f16 v0, v51, v0
	v_lshl_add_u32 v1, v2, 2, 0
	ds_write_b32 v1, v0
.LBB0_325:
	s_or_b64 exec, exec, s[0:1]
	v_lshrrev_b32_e32 v1, 4, v73
	v_and_b32_e32 v0, 15, v73
	v_add_u32_e32 v1, s12, v1
	v_or_b32_e32 v2, s10, v0
	v_cmp_le_i32_e32 vcc, s36, v1
	v_cmp_le_i32_e64 s[0:1], s33, v2
	s_or_b64 s[0:1], vcc, s[0:1]
	s_and_saveexec_b64 s[14:15], s[0:1]
	s_xor_b64 s[0:1], exec, s[14:15]
	s_cbranch_execz .LBB0_327
; %bb.326:
	s_movk_i32 s13, 0x64
	v_mad_u32_u24 v0, v73, s13, v54
	v_lshl_add_u32 v0, v0, 2, 0
	v_mov_b32_e32 v1, 0
	ds_write_b32 v0, v1
                                        ; implicit-def: $vgpr1
                                        ; implicit-def: $vgpr0
                                        ; implicit-def: $vgpr73
.LBB0_327:
	s_andn2_saveexec_b64 s[0:1], s[0:1]
	s_cbranch_execz .LBB0_329
; %bb.328:
	v_mul_lo_u32 v1, v1, s57
	v_mul_lo_u32 v0, v0, s45
	v_add3_u32 v0, v0, v54, v1
	v_ashrrev_i32_e32 v1, 31, v0
	v_lshlrev_b64 v[0:1], 3, v[0:1]
	v_mov_b32_e32 v2, s9
	v_add_co_u32_e32 v0, vcc, s8, v0
	v_addc_co_u32_e32 v1, vcc, v2, v1, vcc
	global_load_dwordx2 v[0:1], v[0:1], off
	s_movk_i32 s13, 0x64
	v_mad_u32_u24 v2, v73, s13, v54
	s_waitcnt vmcnt(0)
	v_cvt_f16_f32_e32 v0, v0
	v_cvt_f16_f32_e32 v1, v1
	v_pack_b32_f16 v0, v0, v1
	v_pk_mul_f16 v0, v51, v0
	v_lshl_add_u32 v1, v2, 2, 0
	ds_write_b32 v1, v0
.LBB0_329:
	s_or_b64 exec, exec, s[0:1]
	v_lshrrev_b32_e32 v0, 4, v69
	v_add_u32_e32 v0, s12, v0
	v_cmp_le_i32_e32 vcc, s36, v0
	s_or_b64 s[0:1], vcc, s[2:3]
	s_and_saveexec_b64 s[2:3], s[0:1]
	s_xor_b64 s[0:1], exec, s[2:3]
	s_cbranch_execz .LBB0_331
; %bb.330:
	s_movk_i32 s2, 0x64
	v_mad_u32_u24 v0, v69, s2, v54
	v_lshl_add_u32 v0, v0, 2, 0
	v_mov_b32_e32 v1, 0
	ds_write_b32 v0, v1
                                        ; implicit-def: $vgpr0
                                        ; implicit-def: $vgpr71
                                        ; implicit-def: $vgpr69
.LBB0_331:
	s_andn2_saveexec_b64 s[0:1], s[0:1]
	s_cbranch_execz .LBB0_333
; %bb.332:
	v_mul_lo_u32 v0, v0, s57
	v_mul_lo_u32 v1, v71, s45
	v_add3_u32 v0, v1, v54, v0
	v_ashrrev_i32_e32 v1, 31, v0
	v_lshlrev_b64 v[0:1], 3, v[0:1]
	v_mov_b32_e32 v2, s9
	v_add_co_u32_e32 v0, vcc, s8, v0
	v_addc_co_u32_e32 v1, vcc, v2, v1, vcc
	global_load_dwordx2 v[0:1], v[0:1], off
	s_movk_i32 s2, 0x64
	v_mad_u32_u24 v2, v69, s2, v54
	s_waitcnt vmcnt(0)
	v_cvt_f16_f32_e32 v0, v0
	v_cvt_f16_f32_e32 v1, v1
	v_pack_b32_f16 v0, v0, v1
	v_pk_mul_f16 v0, v51, v0
	v_lshl_add_u32 v1, v2, 2, 0
	ds_write_b32 v1, v0
.LBB0_333:
	s_or_b64 exec, exec, s[0:1]
	v_lshrrev_b32_e32 v1, 4, v67
	v_and_b32_e32 v0, 15, v67
	v_add_u32_e32 v1, s12, v1
	v_or_b32_e32 v2, s10, v0
	v_cmp_le_i32_e32 vcc, s36, v1
	v_cmp_le_i32_e64 s[0:1], s33, v2
	s_or_b64 s[0:1], vcc, s[0:1]
	s_and_saveexec_b64 s[2:3], s[0:1]
	s_xor_b64 s[0:1], exec, s[2:3]
	s_cbranch_execz .LBB0_335
; %bb.334:
	s_movk_i32 s2, 0x64
	v_mad_u32_u24 v0, v67, s2, v54
	v_lshl_add_u32 v0, v0, 2, 0
	v_mov_b32_e32 v1, 0
	ds_write_b32 v0, v1
                                        ; implicit-def: $vgpr1
                                        ; implicit-def: $vgpr0
                                        ; implicit-def: $vgpr67
.LBB0_335:
	s_andn2_saveexec_b64 s[0:1], s[0:1]
	s_cbranch_execz .LBB0_337
; %bb.336:
	v_mul_lo_u32 v1, v1, s57
	v_mul_lo_u32 v0, v0, s45
	v_add3_u32 v0, v0, v54, v1
	v_ashrrev_i32_e32 v1, 31, v0
	v_lshlrev_b64 v[0:1], 3, v[0:1]
	v_mov_b32_e32 v2, s9
	v_add_co_u32_e32 v0, vcc, s8, v0
	v_addc_co_u32_e32 v1, vcc, v2, v1, vcc
	global_load_dwordx2 v[0:1], v[0:1], off
	s_movk_i32 s2, 0x64
	v_mad_u32_u24 v2, v67, s2, v54
	s_waitcnt vmcnt(0)
	v_cvt_f16_f32_e32 v0, v0
	v_cvt_f16_f32_e32 v1, v1
	v_pack_b32_f16 v0, v0, v1
	v_pk_mul_f16 v0, v51, v0
	v_lshl_add_u32 v1, v2, 2, 0
	ds_write_b32 v1, v0
.LBB0_337:
	s_or_b64 exec, exec, s[0:1]
	v_lshrrev_b32_e32 v1, 4, v65
	v_and_b32_e32 v0, 15, v65
	v_add_u32_e32 v1, s12, v1
	v_or_b32_e32 v2, s10, v0
	v_cmp_le_i32_e32 vcc, s36, v1
	v_cmp_le_i32_e64 s[0:1], s33, v2
	s_or_b64 s[0:1], vcc, s[0:1]
	s_and_saveexec_b64 s[2:3], s[0:1]
	s_xor_b64 s[0:1], exec, s[2:3]
	s_cbranch_execz .LBB0_339
; %bb.338:
	s_movk_i32 s2, 0x64
	v_mad_u32_u24 v0, v65, s2, v54
	v_lshl_add_u32 v0, v0, 2, 0
	v_mov_b32_e32 v1, 0
	ds_write_b32 v0, v1
                                        ; implicit-def: $vgpr1
                                        ; implicit-def: $vgpr0
                                        ; implicit-def: $vgpr65
.LBB0_339:
	s_andn2_saveexec_b64 s[0:1], s[0:1]
	s_cbranch_execz .LBB0_341
; %bb.340:
	v_mul_lo_u32 v1, v1, s57
	v_mul_lo_u32 v0, v0, s45
	v_add3_u32 v0, v0, v54, v1
	v_ashrrev_i32_e32 v1, 31, v0
	v_lshlrev_b64 v[0:1], 3, v[0:1]
	v_mov_b32_e32 v2, s9
	v_add_co_u32_e32 v0, vcc, s8, v0
	v_addc_co_u32_e32 v1, vcc, v2, v1, vcc
	global_load_dwordx2 v[0:1], v[0:1], off
	s_movk_i32 s2, 0x64
	v_mad_u32_u24 v2, v65, s2, v54
	s_waitcnt vmcnt(0)
	v_cvt_f16_f32_e32 v0, v0
	v_cvt_f16_f32_e32 v1, v1
	v_pack_b32_f16 v0, v0, v1
	v_pk_mul_f16 v0, v51, v0
	v_lshl_add_u32 v1, v2, 2, 0
	ds_write_b32 v1, v0
.LBB0_341:
	s_or_b64 exec, exec, s[0:1]
	v_lshrrev_b32_e32 v1, 4, v59
	v_and_b32_e32 v0, 15, v59
	v_add_u32_e32 v1, s12, v1
	v_or_b32_e32 v2, s10, v0
	v_cmp_le_i32_e32 vcc, s36, v1
	v_cmp_le_i32_e64 s[0:1], s33, v2
	s_or_b64 s[0:1], vcc, s[0:1]
	s_and_saveexec_b64 s[2:3], s[0:1]
	s_xor_b64 s[0:1], exec, s[2:3]
	s_cbranch_execz .LBB0_343
; %bb.342:
	s_movk_i32 s2, 0x64
	v_mad_u32_u24 v0, v59, s2, v54
	v_lshl_add_u32 v0, v0, 2, 0
	v_mov_b32_e32 v1, 0
	ds_write_b32 v0, v1
                                        ; implicit-def: $vgpr1
                                        ; implicit-def: $vgpr0
                                        ; implicit-def: $vgpr59
.LBB0_343:
	s_andn2_saveexec_b64 s[0:1], s[0:1]
	s_cbranch_execz .LBB0_345
; %bb.344:
	v_mul_lo_u32 v1, v1, s57
	v_mul_lo_u32 v0, v0, s45
	v_add3_u32 v0, v0, v54, v1
	v_ashrrev_i32_e32 v1, 31, v0
	v_lshlrev_b64 v[0:1], 3, v[0:1]
	v_mov_b32_e32 v2, s9
	v_add_co_u32_e32 v0, vcc, s8, v0
	v_addc_co_u32_e32 v1, vcc, v2, v1, vcc
	global_load_dwordx2 v[0:1], v[0:1], off
	s_movk_i32 s2, 0x64
	v_mad_u32_u24 v2, v59, s2, v54
	s_waitcnt vmcnt(0)
	v_cvt_f16_f32_e32 v0, v0
	v_cvt_f16_f32_e32 v1, v1
	v_pack_b32_f16 v0, v0, v1
	v_pk_mul_f16 v0, v51, v0
	v_lshl_add_u32 v1, v2, 2, 0
	ds_write_b32 v1, v0
.LBB0_345:
	s_or_b64 exec, exec, s[0:1]
	v_lshrrev_b32_e32 v78, 5, v54
	v_lshl_add_u32 v77, v57, 1, v78
	v_lshrrev_b32_e32 v0, 4, v77
	v_and_b32_e32 v1, 15, v77
	v_add_u32_e32 v2, s12, v0
	v_or_b32_e32 v0, s10, v1
	v_cmp_gt_i32_e64 s[0:1], s33, v0
	v_cmp_le_i32_e32 vcc, s36, v2
	s_xor_b64 s[2:3], s[0:1], -1
	v_and_b32_e32 v31, 31, v54
	s_or_b64 s[0:1], vcc, s[2:3]
	s_and_saveexec_b64 s[14:15], s[0:1]
	s_xor_b64 s[0:1], exec, s[14:15]
	s_cbranch_execz .LBB0_347
; %bb.346:
	s_movk_i32 s13, 0x64
	v_mad_u32_u24 v0, v77, s13, v31
	v_lshl_add_u32 v0, v0, 2, 0
	v_mov_b32_e32 v2, 0
	ds_write_b32 v0, v2 offset:256
                                        ; implicit-def: $vgpr2
.LBB0_347:
	s_or_saveexec_b64 s[0:1], s[0:1]
	v_or_b32_e32 v0, 64, v31
	s_xor_b64 exec, exec, s[0:1]
	s_cbranch_execz .LBB0_349
; %bb.348:
	v_mul_lo_u32 v2, v2, s57
	v_mul_lo_u32 v3, v1, s45
	v_add3_u32 v2, v3, v0, v2
	v_ashrrev_i32_e32 v3, 31, v2
	v_lshlrev_b64 v[2:3], 3, v[2:3]
	v_mov_b32_e32 v4, s9
	v_add_co_u32_e32 v2, vcc, s8, v2
	v_addc_co_u32_e32 v3, vcc, v4, v3, vcc
	global_load_dwordx2 v[2:3], v[2:3], off
	s_movk_i32 s13, 0x64
	v_mad_u32_u24 v4, v77, s13, v31
	s_waitcnt vmcnt(0)
	v_cvt_f16_f32_e32 v2, v2
	v_cvt_f16_f32_e32 v3, v3
	v_pack_b32_f16 v2, v2, v3
	v_pk_mul_f16 v2, v51, v2
	v_lshl_add_u32 v3, v4, 2, 0
	ds_write_b32 v3, v2 offset:256
.LBB0_349:
	s_or_b64 exec, exec, s[0:1]
	v_add_u32_e32 v2, 8, v77
	v_lshrrev_b32_e32 v4, 4, v2
	v_and_b32_e32 v3, 15, v2
	v_add_u32_e32 v4, s12, v4
	v_or_b32_e32 v5, s10, v3
	v_cmp_le_i32_e32 vcc, s36, v4
	v_cmp_le_i32_e64 s[0:1], s33, v5
	s_sub_i32 s13, 0, s7
	s_or_b64 s[0:1], vcc, s[0:1]
	s_and_saveexec_b64 s[14:15], s[0:1]
	s_xor_b64 s[0:1], exec, s[14:15]
	s_cbranch_execz .LBB0_351
; %bb.350:
	s_movk_i32 s14, 0x64
	v_mad_u32_u24 v2, v2, s14, v31
	v_lshl_add_u32 v2, v2, 2, 0
	v_mov_b32_e32 v3, 0
	ds_write_b32 v2, v3 offset:256
                                        ; implicit-def: $vgpr4
                                        ; implicit-def: $vgpr3
                                        ; implicit-def: $vgpr2
.LBB0_351:
	s_or_saveexec_b64 s[0:1], s[0:1]
	s_mul_i32 s13, s13, s11
	s_xor_b64 exec, exec, s[0:1]
	s_cbranch_execz .LBB0_353
; %bb.352:
	v_mul_lo_u32 v4, v4, s57
	v_mul_lo_u32 v3, v3, s45
	v_add3_u32 v4, v3, v0, v4
	v_ashrrev_i32_e32 v5, 31, v4
	v_lshlrev_b64 v[4:5], 3, v[4:5]
	v_mov_b32_e32 v3, s9
	v_add_co_u32_e32 v4, vcc, s8, v4
	v_addc_co_u32_e32 v5, vcc, v3, v5, vcc
	global_load_dwordx2 v[4:5], v[4:5], off
	s_movk_i32 s14, 0x64
	v_mad_u32_u24 v2, v2, s14, v31
	v_lshl_add_u32 v2, v2, 2, 0
	s_waitcnt vmcnt(0)
	v_cvt_f16_f32_e32 v3, v4
	v_cvt_f16_f32_e32 v4, v5
	v_pack_b32_f16 v3, v3, v4
	v_pk_mul_f16 v3, v51, v3
	ds_write_b32 v2, v3 offset:256
.LBB0_353:
	s_or_b64 exec, exec, s[0:1]
	v_add_u32_e32 v2, 16, v77
	v_lshrrev_b32_e32 v3, 4, v2
	v_add_u32_e32 v3, s12, v3
	v_cmp_le_i32_e32 vcc, s36, v3
	s_mul_hi_u32 s13, s11, s13
	s_or_b64 s[0:1], vcc, s[2:3]
	s_and_saveexec_b64 s[2:3], s[0:1]
	s_xor_b64 s[0:1], exec, s[2:3]
	s_cbranch_execz .LBB0_355
; %bb.354:
	s_movk_i32 s2, 0x64
	v_mad_u32_u24 v1, v2, s2, v31
	v_lshl_add_u32 v1, v1, 2, 0
	v_mov_b32_e32 v2, 0
	ds_write_b32 v1, v2 offset:256
                                        ; implicit-def: $vgpr3
                                        ; implicit-def: $vgpr1
                                        ; implicit-def: $vgpr2
.LBB0_355:
	s_or_saveexec_b64 s[0:1], s[0:1]
	s_abs_i32 s2, s4
	s_add_i32 s11, s11, s13
	s_xor_b64 exec, exec, s[0:1]
	s_cbranch_execz .LBB0_357
; %bb.356:
	v_mul_lo_u32 v3, v3, s57
	v_mul_lo_u32 v1, v1, s45
	v_add3_u32 v4, v1, v0, v3
	v_ashrrev_i32_e32 v5, 31, v4
	v_lshlrev_b64 v[4:5], 3, v[4:5]
	v_mov_b32_e32 v1, s9
	v_add_co_u32_e32 v4, vcc, s8, v4
	v_addc_co_u32_e32 v5, vcc, v1, v5, vcc
	global_load_dwordx2 v[4:5], v[4:5], off
	s_movk_i32 s3, 0x64
	v_mad_u32_u24 v2, v2, s3, v31
	v_lshl_add_u32 v2, v2, 2, 0
	s_waitcnt vmcnt(0)
	v_cvt_f16_f32_e32 v1, v4
	v_cvt_f16_f32_e32 v3, v5
	v_pack_b32_f16 v1, v1, v3
	v_pk_mul_f16 v1, v51, v1
	ds_write_b32 v2, v1 offset:256
.LBB0_357:
	s_or_b64 exec, exec, s[0:1]
	v_add_u32_e32 v1, 24, v77
	v_lshrrev_b32_e32 v3, 4, v1
	v_and_b32_e32 v2, 15, v1
	v_add_u32_e32 v3, s12, v3
	v_or_b32_e32 v4, s10, v2
	v_cmp_le_i32_e32 vcc, s36, v3
	v_cmp_le_i32_e64 s[0:1], s33, v4
	s_mul_hi_u32 s3, s2, s11
	s_or_b64 s[0:1], vcc, s[0:1]
	s_and_saveexec_b64 s[10:11], s[0:1]
	s_xor_b64 s[0:1], exec, s[10:11]
	s_cbranch_execz .LBB0_359
; %bb.358:
	s_movk_i32 s10, 0x64
	v_mad_u32_u24 v0, v1, s10, v31
	v_lshl_add_u32 v0, v0, 2, 0
	v_mov_b32_e32 v1, 0
	ds_write_b32 v0, v1 offset:256
                                        ; implicit-def: $vgpr3
                                        ; implicit-def: $vgpr2
                                        ; implicit-def: $vgpr0
                                        ; implicit-def: $vgpr51
                                        ; implicit-def: $vgpr1
.LBB0_359:
	s_or_saveexec_b64 s[0:1], s[0:1]
	s_ashr_i32 s13, s4, 31
	s_xor_b64 exec, exec, s[0:1]
	s_cbranch_execz .LBB0_361
; %bb.360:
	v_mul_lo_u32 v3, v3, s57
	v_mul_lo_u32 v2, v2, s45
	v_add3_u32 v2, v2, v0, v3
	v_ashrrev_i32_e32 v3, 31, v2
	v_lshlrev_b64 v[2:3], 3, v[2:3]
	v_mov_b32_e32 v0, s9
	v_add_co_u32_e32 v2, vcc, s8, v2
	v_addc_co_u32_e32 v3, vcc, v0, v3, vcc
	global_load_dwordx2 v[2:3], v[2:3], off
	s_movk_i32 s8, 0x64
	v_mad_u32_u24 v1, v1, s8, v31
	v_lshl_add_u32 v1, v1, 2, 0
	s_waitcnt vmcnt(0)
	v_cvt_f16_f32_e32 v0, v2
	v_cvt_f16_f32_e32 v2, v3
	v_pack_b32_f16 v0, v0, v2
	v_pk_mul_f16 v0, v51, v0
	ds_write_b32 v1, v0 offset:256
.LBB0_361:
	s_or_b64 exec, exec, s[0:1]
	s_mul_i32 s0, s4, s41
	s_mul_hi_u32 s1, s4, s40
	s_add_i32 s0, s1, s0
	s_mul_i32 s1, s13, s40
	v_readlane_b32 s8, v255, 6
	s_add_i32 s0, s0, s1
	s_mul_i32 s1, s4, s40
	v_readlane_b32 s9, v255, 7
	s_add_u32 s1, s18, s1
	s_mul_i32 s8, s5, s9
	s_addc_u32 s0, s19, s0
	s_ashr_i32 s10, s8, 31
	s_add_u32 s9, s1, s8
	s_mul_i32 s3, s3, s7
	s_addc_u32 s10, s0, s10
	s_sub_i32 s0, s2, s3
	s_sub_i32 s1, s0, s7
	s_cmp_ge_u32 s0, s7
	s_cselect_b32 s0, s1, s0
	s_sub_i32 s1, s0, s7
	s_cmp_ge_u32 s0, s7
	s_cselect_b32 s0, s1, s0
	s_xor_b32 s0, s0, s13
	s_sub_i32 s0, s0, s13
	s_ashr_i32 s1, s0, 31
	s_mul_i32 s2, s0, s51
	s_mul_hi_u32 s3, s0, s50
	s_add_i32 s2, s3, s2
	s_mul_i32 s1, s1, s50
	s_add_i32 s2, s2, s1
	s_mul_i32 s0, s0, s50
	s_add_u32 s11, s22, s0
	s_mul_i32 s0, s4, s49
	s_mul_hi_u32 s1, s4, s48
	s_addc_u32 s12, s23, s2
	s_add_i32 s0, s1, s0
	s_mul_i32 s13, s13, s48
	s_add_i32 s0, s0, s13
	s_mul_i32 s4, s4, s48
	s_add_u32 s1, s20, s4
	s_mul_i32 s5, s5, s43
	s_addc_u32 s0, s21, s0
	s_ashr_i32 s2, s5, 31
	s_add_u32 s7, s1, s5
	v_lshrrev_b32_e32 v25, 3, v54
	s_addc_u32 s8, s0, s2
	v_and_b32_e32 v0, 0x1ff0, v61
	s_movk_i32 s0, 0x190
	v_and_b32_e32 v56, 15, v54
	v_and_b32_e32 v58, 0x7e, v25
	v_mad_u32_u24 v0, v0, s0, 0
	v_mul_u32_u24_e32 v1, 0x190, v56
	v_lshlrev_b32_e32 v82, 2, v58
	v_add3_u32 v16, v0, v1, v82
	s_waitcnt lgkmcnt(0)
	s_barrier
	ds_read2_b64 v[12:15], v16 offset1:4
	ds_read2_b64 v[8:11], v16 offset0:8 offset1:12
	ds_read2_b64 v[4:7], v16 offset0:16 offset1:20
	;; [unrolled: 1-line block ×5, first 2 shown]
	v_add_u32_e32 v89, -1, v24
	v_cmp_ge_i32_e32 vcc, s76, v89
	v_add_u32_e32 v83, v25, v61
	s_and_b64 vcc, exec, vcc
	v_mov_b32_e32 v87, 0
	v_cmp_gt_u32_e64 s[0:1], 2, v77
	v_lshrrev_b32_e32 v84, 4, v54
	v_add_u32_e32 v85, 32, v83
	v_mul_lo_u32 v28, s38, v83
	v_lshlrev_b32_e32 v81, 4, v56
	v_lshrrev_b32_e32 v80, 2, v54
	v_mbcnt_lo_u32_b32 v79, -1, 0
	v_and_b32_e32 v62, 8, v61
	v_or_b32_e32 v65, 1, v25
	v_lshlrev_b32_e32 v60, 1, v56
	s_waitcnt lgkmcnt(0)
	s_barrier
	s_cbranch_vccnz .LBB0_366
; %bb.362:
	v_add_u32_e32 v24, s6, v57
	v_lshl_add_u32 v24, v24, 1, v78
	v_readlane_b32 s2, v255, 4
	v_mul_hi_u32 v25, s2, v24
	v_readlane_b32 s3, v255, 5
	v_add_u32_e32 v25, v24, v25
	v_lshlrev_b32_e32 v32, 2, v54
	v_lshrrev_b32_e32 v25, s3, v25
	v_and_b32_e32 v30, 28, v32
	v_mul_lo_u32 v25, v25, s36
	v_mul_u32_u24_e32 v44, 0x110, v83
	v_lshlrev_b32_e32 v45, 2, v30
	v_sub_u32_e32 v24, v24, v25
	v_mul_u32_u24_e32 v25, 0x90, v77
	v_and_b32_e32 v26, 0x7c, v32
	v_and_b32_e32 v33, 16, v202
	v_mul_u32_u24_e32 v38, 0x110, v85
	v_add3_u32 v93, 0, v44, v45
	v_and_b32_e32 v44, 0xfc, v80
	s_movk_i32 s4, 0x90
	v_add3_u32 v90, 0, v25, v26
	v_mad_i64_i32 v[24:25], s[2:3], v24, s46, 0
	v_add3_u32 v94, 0, v38, v45
	v_mul_u32_u24_e32 v63, 0x110, v33
	v_add_u32_e32 v45, v44, v33
	v_add_u16_e32 v33, v44, v33
	v_lshlrev_b64 v[24:25], 1, v[24:25]
	v_mad_u32_u24 v46, v55, s4, 0
	v_lshrrev_b16_e32 v33, 1, v33
	v_mov_b32_e32 v27, s12
	v_add_co_u32_e32 v24, vcc, s11, v24
	v_lshl_add_u32 v64, v33, 2, v46
	v_lshl_add_u32 v33, v45, 1, v46
	v_addc_co_u32_e32 v25, vcc, v27, v25, vcc
	v_add_u32_e32 v99, 64, v33
	v_add_u32_e32 v100, 0x44, v33
	v_mbcnt_hi_u32_b32 v33, -1, v79
	v_add_co_u32_e32 v91, vcc, v24, v26
	v_and_b32_e32 v44, 64, v33
	v_addc_co_u32_e32 v92, vcc, 0, v25, vcc
	s_movk_i32 s2, 0x110
	v_mul_u32_u24_e32 v24, 0x110, v56
	v_lshl_add_u32 v37, v57, 2, v84
	v_add_u32_e32 v44, 64, v44
	v_xor_b32_e32 v45, 32, v33
	v_add3_u32 v36, 0, v24, v82
	v_mad_u32_u24 v39, v37, s2, 0
	v_mul_lo_u32 v24, s38, v37
	s_lshl_b32 s2, s38, 4
	v_cmp_lt_i32_e32 vcc, v45, v44
	v_add_u32_e32 v26, s2, v24
	v_cndmask_b32_e32 v45, v33, v45, vcc
	v_add_u32_e32 v40, s2, v26
	v_lshlrev_b32_e32 v101, 2, v45
	v_xor_b32_e32 v45, 16, v33
	v_add_u32_e32 v42, s2, v40
	v_cmp_lt_i32_e32 vcc, v45, v44
	v_mul_lo_u32 v44, s34, v37
	s_lshl_b32 s2, s34, 4
	v_and_b32_e32 v46, 60, v32
	v_add_u32_e32 v48, s2, v44
	v_add_u32_e32 v47, 0x1100, v39
	;; [unrolled: 1-line block ×4, first 2 shown]
	v_lshlrev_b32_e32 v32, 2, v46
	v_add_u32_e32 v50, s2, v48
	v_add_u32_e32 v97, v52, v81
	v_cndmask_b32_e32 v33, v33, v45, vcc
	v_add_u32_e32 v103, v39, v32
	v_add_u32_e32 v104, v47, v32
	;; [unrolled: 1-line block ×5, first 2 shown]
	v_mul_u32_u24_e32 v32, 0x110, v58
	v_mul_u32_u24_e32 v37, 0x110, v65
	s_movk_i32 s2, 0x220
	v_add_u32_e32 v95, v39, v81
	v_add_u32_e32 v98, v59, v81
	v_lshlrev_b32_e32 v102, 2, v33
	v_or_b32_e32 v33, v32, v56
	v_or_b32_e32 v39, v37, v56
	v_mad_u32_u24 v59, v62, s2, 0
	v_lshlrev_b32_e32 v33, 1, v33
	v_add_u32_e32 v66, v59, v60
	v_lshlrev_b32_e32 v39, 1, v39
	v_add_u32_e32 v107, v59, v33
	v_lshlrev_b32_e32 v32, 1, v32
	v_add_u32_e32 v109, v59, v39
	v_lshlrev_b32_e32 v37, 1, v37
	v_add_u32_e32 v59, 0x2200, v66
	v_add_u32_e32 v96, v47, v81
	v_mul_u32_u24_e32 v47, 0x220, v62
	v_add_u32_e32 v111, v59, v32
	v_add_u32_e32 v112, v59, v37
	;; [unrolled: 1-line block ×3, first 2 shown]
	s_movk_i32 s3, 0x2200
	v_add_u32_e32 v113, v59, v32
	v_add_u32_e32 v114, v59, v37
	v_add3_u32 v59, 0, 32, v47
	v_add_u32_e32 v115, v59, v33
	v_add3_u32 v67, v59, v60, s3
	v_add_u32_e32 v117, v59, v39
	v_add_u32_e32 v59, 64, v66
	v_add3_u32 v47, 0, 64, v47
	v_add_u32_e32 v119, v59, v32
	v_add_u32_e32 v120, v59, v37
	v_add_u32_e32 v121, v47, v33
	v_add3_u32 v59, v47, v60, s3
	v_add_u32_e32 v123, v47, v39
	v_add_u32_e32 v47, 0x60, v66
	s_add_i32 s4, 0, 0x60
	v_add_u32_e32 v125, v47, v32
	v_add_u32_e32 v126, v47, v37
	v_mov_b32_e32 v47, s4
	v_mad_u32_u24 v47, v62, s2, v47
	v_add_u32_e32 v122, v59, v32
	v_add_u32_e32 v124, v59, v37
	v_add_u32_e32 v127, v47, v33
	v_add3_u32 v59, v47, v60, s3
	v_add_u32_e32 v129, v47, v39
	v_add_u32_e32 v47, 0x80, v66
	s_add_i32 s4, 0, 0x80
	v_add_u32_e32 v131, v47, v32
	v_add_u32_e32 v132, v47, v37
	v_mov_b32_e32 v47, s4
	v_mad_u32_u24 v47, v62, s2, v47
	;; [unrolled: 11-line block ×4, first 2 shown]
	v_add_u32_e32 v140, v59, v32
	v_add_u32_e32 v142, v59, v37
	;; [unrolled: 1-line block ×3, first 2 shown]
	v_add3_u32 v59, v47, v60, s3
	v_add_u32_e32 v147, v47, v39
	v_add_u32_e32 v47, 0xe0, v66
	s_add_i32 s4, 0, 0xe0
	v_add_u32_e32 v149, v47, v32
	v_add_u32_e32 v150, v47, v37
	v_mov_b32_e32 v47, s4
	v_mul_lo_u32 v34, s38, v85
	v_mad_u32_u24 v47, v62, s2, v47
	v_ashrrev_i32_e32 v25, 31, v24
	v_ashrrev_i32_e32 v27, 31, v26
	;; [unrolled: 1-line block ×6, first 2 shown]
	v_lshlrev_b32_e32 v38, 2, v56
	v_ashrrev_i32_e32 v45, 31, v44
	v_ashrrev_i32_e32 v49, 31, v48
	v_ashrrev_i32_e32 v51, 31, v50
	v_ashrrev_i32_e32 v53, 31, v52
	v_add_u32_e32 v151, v47, v33
	v_add3_u32 v33, v47, v60, s3
	v_mov_b32_e32 v160, 0
	v_add_u32_e32 v108, v66, v32
	v_add_u32_e32 v110, v66, v37
	;; [unrolled: 1-line block ×9, first 2 shown]
	s_lshl_b32 s2, s76, 6
	v_mov_b32_e32 v66, 0xfeffffff
	v_lshlrev_b64 v[32:33], 2, v[28:29]
	v_lshlrev_b32_e32 v29, 2, v30
	v_lshlrev_b64 v[34:35], 2, v[34:35]
	v_add_u32_e32 v155, v36, v63
	v_lshlrev_b64 v[36:37], 2, v[24:25]
	v_lshlrev_b32_e32 v156, 2, v38
	v_lshlrev_b64 v[38:39], 2, v[26:27]
	v_lshlrev_b64 v[40:41], 2, v[40:41]
	v_lshlrev_b64 v[42:43], 2, v[42:43]
	v_add_u32_e32 v157, 0x4400, v64
	s_mov_b32 s13, 0x3fb8aa3b
	s_mov_b32 s14, 0xc2ce8ed0
	;; [unrolled: 1-line block ×4, first 2 shown]
	v_lshlrev_b64 v[44:45], 2, v[44:45]
	v_lshlrev_b32_e32 v158, 2, v46
	v_lshlrev_b64 v[46:47], 2, v[48:49]
	v_lshlrev_b64 v[48:49], 2, v[50:51]
	;; [unrolled: 1-line block ×3, first 2 shown]
	s_mov_b32 s17, 0x5040100
	v_mov_b32_e32 v159, 0x7f800000
	v_mov_b32_e32 v52, 0
	;; [unrolled: 1-line block ×17, first 2 shown]
	s_ashr_i32 s3, s2, 31
	s_and_saveexec_b64 s[4:5], s[0:1]
	s_cbranch_execz .LBB0_364
.LBB0_363:
	s_lshl_b64 s[18:19], s[2:3], 1
	v_mov_b32_e32 v25, s19
	v_add_co_u32_e32 v24, vcc, s18, v91
	v_addc_co_u32_e32 v25, vcc, v92, v25, vcc
	global_load_dword v24, v[24:25], off
	s_waitcnt vmcnt(0)
	ds_write_b32 v90, v24 offset:17408
.LBB0_364:                              ; =>This Inner Loop Header: Depth=1
	s_or_b64 exec, exec, s[4:5]
	s_mul_hi_i32 s5, s2, s38
	s_mul_i32 s4, s2, s38
	s_lshl_b64 s[4:5], s[4:5], 2
	s_add_u32 s3, s9, s4
	s_addc_u32 s4, s10, s5
	v_mov_b32_e32 v24, s4
	v_add_co_u32_e32 v25, vcc, s3, v32
	v_addc_co_u32_e32 v26, vcc, v24, v33, vcc
	v_add_co_u32_e32 v24, vcc, v25, v29
	v_addc_co_u32_e32 v25, vcc, 0, v26, vcc
	v_mov_b32_e32 v26, s4
	v_add_co_u32_e32 v27, vcc, s3, v34
	v_addc_co_u32_e32 v26, vcc, v26, v35, vcc
	v_add_co_u32_e32 v162, vcc, v27, v29
	v_addc_co_u32_e32 v163, vcc, 0, v26, vcc
	global_load_dwordx4 v[24:27], v[24:25], off offset:256
	s_nop 0
	global_load_dwordx4 v[162:165], v[162:163], off offset:256
	v_add_u32_e32 v30, 0x2000, v155
	v_add_co_u32_e32 v161, vcc, s3, v36
	v_mov_b32_e32 v59, s4
	v_mov_b32_e32 v63, s4
	s_mul_hi_i32 s5, s2, s34
	s_waitcnt vmcnt(1)
	ds_write_b128 v93, v[24:27]
	s_waitcnt vmcnt(0)
	ds_write_b128 v94, v[162:165]
	s_waitcnt lgkmcnt(0)
	s_barrier
	ds_read2_b64 v[24:27], v155 offset1:4
	ds_read2_b64 v[162:165], v30 offset0:64 offset1:68
	s_waitcnt lgkmcnt(1)
	v_mfma_f32_16x16x16f16 a[0:3], v[24:25], v[20:21], 0
	v_mov_b32_e32 v24, s4
	v_mov_b32_e32 v25, s4
	s_mul_i32 s4, s2, s34
	s_lshl_b64 s[4:5], s[4:5], 2
	s_waitcnt lgkmcnt(0)
	v_mfma_f32_16x16x16f16 a[4:7], v[162:163], v[20:21], 0
	v_addc_co_u32_e32 v162, vcc, v24, v37, vcc
	v_add_co_u32_e32 v168, vcc, s3, v38
	v_addc_co_u32_e32 v169, vcc, v25, v39, vcc
	v_add_co_u32_e32 v170, vcc, s3, v40
	v_mfma_f32_16x16x16f16 a[0:3], v[26:27], v[22:23], a[0:3]
	ds_read2_b64 v[24:27], v155 offset0:8 offset1:12
	v_addc_co_u32_e32 v59, vcc, v59, v41, vcc
	v_add_co_u32_e32 v171, vcc, s3, v42
	v_addc_co_u32_e32 v63, vcc, v63, v43, vcc
	v_add_co_u32_e32 v166, vcc, v161, v156
	v_mfma_f32_16x16x16f16 a[4:7], v[164:165], v[22:23], a[4:7]
	v_addc_co_u32_e32 v167, vcc, 0, v162, vcc
	ds_read2_b64 v[162:165], v30 offset0:72 offset1:76
	s_waitcnt lgkmcnt(0)
	s_barrier
	s_add_u32 s3, s7, s4
	v_mfma_f32_16x16x16f16 a[0:3], v[24:25], v[16:17], a[0:3]
	v_add_co_u32_e32 v24, vcc, v168, v156
	v_addc_co_u32_e32 v25, vcc, 0, v169, vcc
	v_add_co_u32_e32 v174, vcc, v170, v156
	v_addc_co_u32_e32 v175, vcc, 0, v59, vcc
	v_mfma_f32_16x16x16f16 a[4:7], v[162:163], v[16:17], a[4:7]
	v_add_co_u32_e32 v162, vcc, v171, v156
	v_addc_co_u32_e32 v163, vcc, 0, v63, vcc
	global_load_dwordx4 v[166:169], v[166:167], off
	s_nop 0
	global_load_dwordx4 v[170:173], v[24:25], off
	s_addc_u32 s4, s8, s5
	v_add_co_u32_e32 v161, vcc, s3, v44
	v_mfma_f32_16x16x16f16 a[0:3], v[26:27], v[18:19], a[0:3]
	global_load_dwordx4 v[24:27], v[174:175], off
	s_nop 0
	global_load_dwordx4 v[174:177], v[162:163], off
	v_mov_b32_e32 v59, s4
	v_mov_b32_e32 v63, s4
	s_add_i32 s76, s76, 1
	s_add_i32 s2, s2, 64
	s_waitcnt vmcnt(3)
	ds_write_b128 v95, v[166:169]
	s_waitcnt vmcnt(2)
	ds_write_b128 v96, v[170:173]
	;; [unrolled: 2-line block ×4, first 2 shown]
	v_mfma_f32_16x16x16f16 a[4:7], v[164:165], v[18:19], a[4:7]
	s_waitcnt lgkmcnt(0)
	s_barrier
	ds_read2_b64 v[162:165], v30 offset0:64 offset1:68
	ds_read2_b64 v[24:27], v155 offset1:4
	s_waitcnt lgkmcnt(1)
	v_mfma_f32_16x16x16f16 a[4:7], v[162:163], v[12:13], a[4:7]
	s_waitcnt lgkmcnt(0)
	v_mfma_f32_16x16x16f16 a[0:3], v[24:25], v[12:13], a[0:3]
	v_mfma_f32_16x16x16f16 a[4:7], v[164:165], v[14:15], a[4:7]
	ds_read2_b64 v[162:165], v30 offset0:72 offset1:76
	v_mfma_f32_16x16x16f16 a[0:3], v[26:27], v[14:15], a[0:3]
	ds_read2_b64 v[24:27], v155 offset0:8 offset1:12
	s_waitcnt lgkmcnt(1)
	v_mfma_f32_16x16x16f16 a[4:7], v[162:163], v[8:9], a[4:7]
	s_waitcnt lgkmcnt(0)
	v_mfma_f32_16x16x16f16 a[0:3], v[24:25], v[8:9], a[0:3]
	v_mfma_f32_16x16x16f16 a[4:7], v[164:165], v[10:11], a[4:7]
	ds_read2_b64 v[162:165], v155 offset0:16 offset1:20
	v_mfma_f32_16x16x16f16 a[0:3], v[26:27], v[10:11], a[0:3]
	ds_read2_b64 v[24:27], v30 offset0:80 offset1:84
	s_waitcnt lgkmcnt(1)
	v_mfma_f32_16x16x16f16 a[8:11], v[162:163], v[4:5], a[0:3]
	s_waitcnt lgkmcnt(0)
	v_mfma_f32_16x16x16f16 a[0:3], v[24:25], v[4:5], a[4:7]
	v_mov_b32_e32 v24, s4
	v_addc_co_u32_e32 v166, vcc, v24, v45, vcc
	v_mov_b32_e32 v25, s4
	v_add_co_u32_e32 v176, vcc, s3, v46
	v_addc_co_u32_e32 v177, vcc, v25, v47, vcc
	v_mfma_f32_16x16x16f16 a[4:7], v[164:165], v[6:7], a[8:11]
	ds_read2_b64 v[162:165], v155 offset0:24 offset1:28
	v_mfma_f32_16x16x16f16 a[0:3], v[26:27], v[6:7], a[0:3]
	ds_read2_b64 v[24:27], v30 offset0:88 offset1:92
	s_waitcnt lgkmcnt(0)
	s_barrier
	ds_read_b32 v168, v99 offset:17408
	v_add_co_u32_e32 v30, vcc, s3, v48
	v_mfma_f32_16x16x16f16 a[4:7], v[162:163], v[0:1], a[4:7]
	v_addc_co_u32_e32 v59, vcc, v59, v49, vcc
	v_add_co_u32_e32 v162, vcc, v161, v158
	v_addc_co_u32_e32 v163, vcc, 0, v166, vcc
	v_mfma_f32_16x16x16f16 a[0:3], v[24:25], v[0:1], a[0:3]
	ds_read2_b32 v[24:25], v157 offset1:1
	ds_read_b32 v169, v100 offset:17408
	s_waitcnt lgkmcnt(1)
	v_cvt_f32_f16_e32 v166, v24
	v_cvt_f32_f16_sdwa v167, v24 dst_sel:DWORD dst_unused:UNUSED_PAD src0_sel:WORD_1
	v_cvt_f32_f16_e32 v24, v25
	v_mfma_f32_16x16x16f16 a[4:7], v[164:165], v[2:3], a[4:7]
	v_cvt_f32_f16_sdwa v25, v25 dst_sel:DWORD dst_unused:UNUSED_PAD src0_sel:WORD_1
	s_waitcnt lgkmcnt(0)
	v_cvt_f32_f16_sdwa v165, v169 dst_sel:DWORD dst_unused:UNUSED_PAD src0_sel:WORD_1
	v_cvt_f32_f16_e32 v164, v169
	v_cvt_f32_f16_sdwa v169, v168 dst_sel:DWORD dst_unused:UNUSED_PAD src0_sel:WORD_1
	v_cvt_f32_f16_e32 v168, v168
	v_mfma_f32_16x16x16f16 a[0:3], v[26:27], v[2:3], a[0:3]
	s_nop 3
	v_accvgpr_read_b32 v173, a5
	v_accvgpr_read_b32 v172, a4
	v_accvgpr_read_b32 v27, a7
	v_accvgpr_read_b32 v26, a6
	v_pk_add_f32 v[166:167], v[172:173], v[166:167]
	v_pk_add_f32 v[24:25], v[26:27], v[24:25]
	v_add_f32_e32 v26, 0x40051340, v166
	v_add_f32_e32 v27, 0x40051340, v167
	v_accvgpr_read_b32 v175, a1
	v_accvgpr_read_b32 v174, a0
	;; [unrolled: 1-line block ×4, first 2 shown]
	v_pk_add_f32 v[168:169], v[174:175], v[168:169]
	v_add_f32_e32 v173, 0x40051340, v24
	v_add_f32_e32 v174, 0x40051340, v25
	v_max3_f32 v26, v66, v26, v27
	v_pk_add_f32 v[164:165], v[170:171], v[164:165]
	v_add_f32_e32 v171, 0x40051340, v168
	v_add_f32_e32 v172, 0x40051340, v169
	v_max3_f32 v26, v26, v173, v174
	v_add_f32_e32 v161, 0x40051340, v164
	v_add_f32_e32 v170, 0x40051340, v165
	v_max3_f32 v26, v26, v171, v172
	v_max3_f32 v26, v26, v161, v170
	ds_bpermute_b32 v27, v101, v26
	v_add_co_u32_e32 v170, vcc, v176, v158
	v_addc_co_u32_e32 v171, vcc, 0, v177, vcc
	s_waitcnt lgkmcnt(0)
	v_max_f32_e32 v27, v27, v27
	v_max_f32_e32 v26, v26, v27
	ds_bpermute_b32 v27, v102, v26
	v_add_co_u32_e32 v172, vcc, v30, v158
	v_addc_co_u32_e32 v173, vcc, 0, v59, vcc
	s_waitcnt lgkmcnt(0)
	v_max_f32_e32 v27, v27, v27
	v_max_f32_e32 v30, v26, v27
	v_pk_add_f32 v[26:27], v[166:167], v[30:31] op_sel_hi:[1,0] neg_lo:[0,1] neg_hi:[0,1]
	v_mul_f32_e32 v59, 0x3fb8aa3b, v27
	v_pk_add_f32 v[24:25], v[24:25], v[30:31] op_sel_hi:[1,0] neg_lo:[0,1] neg_hi:[0,1]
	v_pk_add_f32 v[174:175], v[168:169], v[30:31] op_sel_hi:[1,0] neg_lo:[0,1] neg_hi:[0,1]
	v_mul_f32_e32 v161, 0x3fb8aa3b, v26
	v_fma_f32 v168, v27, s13, -v59
	v_rndne_f32_e32 v169, v59
	v_pk_add_f32 v[176:177], v[164:165], v[30:31] op_sel_hi:[1,0] neg_lo:[0,1] neg_hi:[0,1]
	v_mul_f32_e32 v164, 0x3fb8aa3b, v25
	v_fma_f32 v178, v26, s13, -v161
	v_rndne_f32_e32 v179, v161
	v_fmac_f32_e32 v168, 0x32a5705f, v27
	v_sub_f32_e32 v59, v59, v169
	v_mul_f32_e32 v165, 0x3fb8aa3b, v24
	v_fma_f32 v181, v25, s13, -v164
	v_rndne_f32_e32 v182, v164
	v_fmac_f32_e32 v178, 0x32a5705f, v26
	v_sub_f32_e32 v161, v161, v179
	v_add_f32_e32 v59, v59, v168
	v_mul_f32_e32 v166, 0x3fb8aa3b, v175
	v_fma_f32 v183, v24, s13, -v165
	v_rndne_f32_e32 v184, v165
	v_cvt_i32_f32_e32 v169, v169
	v_fmac_f32_e32 v181, 0x32a5705f, v25
	v_sub_f32_e32 v164, v164, v182
	v_add_f32_e32 v161, v161, v178
	v_exp_f32_e32 v59, v59
	v_fma_f32 v185, v175, s13, -v166
	v_rndne_f32_e32 v186, v166
	v_cvt_i32_f32_e32 v179, v179
	v_fmac_f32_e32 v183, 0x32a5705f, v24
	v_sub_f32_e32 v165, v165, v184
	v_add_f32_e32 v164, v164, v181
	v_exp_f32_e32 v161, v161
	v_cvt_i32_f32_e32 v182, v182
	v_fmac_f32_e32 v185, 0x32a5705f, v175
	v_sub_f32_e32 v166, v166, v186
	v_add_f32_e32 v165, v165, v183
	v_exp_f32_e32 v164, v164
	v_cvt_i32_f32_e32 v184, v184
	v_add_f32_e32 v166, v166, v185
	v_exp_f32_e32 v165, v165
	v_cvt_i32_f32_e32 v186, v186
	v_exp_f32_e32 v166, v166
	v_ldexp_f32 v59, v59, v169
	v_cmp_ngt_f32_e32 vcc, s14, v27
	v_ldexp_f32 v161, v161, v179
	v_cndmask_b32_e32 v59, 0, v59, vcc
	v_cmp_ngt_f32_e32 vcc, s14, v26
	v_ldexp_f32 v164, v164, v182
	v_cndmask_b32_e32 v161, 0, v161, vcc
	;; [unrolled: 3-line block ×4, first 2 shown]
	v_cmp_ngt_f32_e32 vcc, s14, v175
	v_mul_f32_e32 v167, 0x3fb8aa3b, v174
	v_cndmask_b32_e32 v166, 0, v166, vcc
	v_cmp_nlt_f32_e32 vcc, s15, v27
	v_fma_f32 v187, v174, s13, -v167
	v_rndne_f32_e32 v188, v167
	v_cndmask_b32_e32 v59, v159, v59, vcc
	v_cmp_nlt_f32_e32 vcc, s15, v26
	v_fmac_f32_e32 v187, 0x32a5705f, v174
	v_sub_f32_e32 v167, v167, v188
	v_cndmask_b32_e32 v161, v159, v161, vcc
	v_cmp_nlt_f32_e32 vcc, s15, v25
	v_add_f32_e32 v167, v167, v187
	v_cndmask_b32_e32 v182, v159, v164, vcc
	v_cmp_nlt_f32_e32 vcc, s15, v24
	v_cvt_i32_f32_e32 v188, v188
	v_exp_f32_e32 v167, v167
	v_cndmask_b32_e32 v183, v159, v165, vcc
	v_cmp_nlt_f32_e32 vcc, s15, v175
	v_cndmask_b32_e32 v175, v159, v166, vcc
	v_add_co_u32_e32 v24, vcc, s3, v50
	v_addc_co_u32_e32 v25, vcc, v63, v51, vcc
	v_add_co_u32_e32 v178, vcc, v24, v158
	v_ldexp_f32 v181, v167, v188
	v_addc_co_u32_e32 v179, vcc, 0, v25, vcc
	global_load_dwordx4 v[24:27], v[162:163], off
	s_nop 0
	global_load_dwordx4 v[162:165], v[170:171], off
	global_load_dwordx4 v[166:169], v[172:173], off
	s_nop 0
	global_load_dwordx4 v[170:173], v[178:179], off
	v_mul_f32_e32 v180, 0x3fb8aa3b, v177
	v_fma_f32 v63, v177, s13, -v180
	v_rndne_f32_e32 v178, v180
	v_fmac_f32_e32 v63, 0x32a5705f, v177
	v_sub_f32_e32 v179, v180, v178
	v_add_f32_e32 v63, v179, v63
	v_exp_f32_e32 v63, v63
	v_cvt_i32_f32_e32 v178, v178
	v_cmp_ngt_f32_e32 vcc, s14, v174
	v_cndmask_b32_e32 v179, 0, v181, vcc
	v_cmp_nlt_f32_e32 vcc, s15, v174
	v_ldexp_f32 v63, v63, v178
	v_mul_f32_e32 v178, 0x3fb8aa3b, v176
	v_cndmask_b32_e32 v174, v159, v179, vcc
	v_fma_f32 v179, v176, s13, -v178
	v_rndne_f32_e32 v180, v178
	v_fmac_f32_e32 v179, 0x32a5705f, v176
	v_sub_f32_e32 v178, v178, v180
	v_add_f32_e32 v178, v178, v179
	v_exp_f32_e32 v178, v178
	v_cvt_i32_f32_e32 v179, v180
	v_cmp_ngt_f32_e32 vcc, s14, v177
	v_sub_f32_e32 v66, v66, v30
	v_cndmask_b32_e32 v63, 0, v63, vcc
	v_cmp_nlt_f32_e32 vcc, s15, v177
	v_ldexp_f32 v177, v178, v179
	v_mul_f32_e32 v178, 0x3fb8aa3b, v66
	v_fma_f32 v179, v66, s13, -v178
	v_rndne_f32_e32 v180, v178
	v_fmac_f32_e32 v179, 0x32a5705f, v66
	v_sub_f32_e32 v178, v178, v180
	v_add_f32_e32 v178, v178, v179
	v_exp_f32_e32 v178, v178
	v_cvt_i32_f32_e32 v179, v180
	v_cndmask_b32_e32 v63, v159, v63, vcc
	v_cmp_ngt_f32_e32 vcc, s14, v176
	v_cndmask_b32_e32 v177, 0, v177, vcc
	v_cmp_nlt_f32_e32 vcc, s15, v176
	v_cndmask_b32_e32 v176, v159, v177, vcc
	v_add_f32_e32 v177, v161, v59
	v_add_f32_e32 v177, v183, v177
	v_ldexp_f32 v178, v178, v179
	v_cmp_ngt_f32_e32 vcc, s14, v66
	v_add_f32_e32 v177, v182, v177
	v_cndmask_b32_e32 v178, 0, v178, vcc
	v_cmp_nlt_f32_e32 vcc, s15, v66
	v_add_f32_e32 v177, v174, v177
	v_cndmask_b32_e32 v178, v159, v178, vcc
	v_cmp_le_f32_e32 vcc, s16, v66
	v_add_f32_e32 v177, v175, v177
	v_cndmask_b32_e32 v178, 0, v178, vcc
	v_cvt_f16_f32_e32 v179, v178
	v_add_f32_e32 v66, v176, v177
	v_add_f32_e32 v66, v63, v66
	v_fmac_f32_e32 v66, v160, v178
	v_cvt_f16_f32_e32 v160, v161
	v_cvt_f16_f32_e32 v59, v59
	v_cvt_f16_f32_e32 v161, v182
	v_cvt_f16_f32_e32 v180, v183
	v_pk_mul_f16 v86, v179, v86 op_sel_hi:[0,1]
	v_pk_mul_f16 v87, v179, v87 op_sel_hi:[0,1]
	s_waitcnt vmcnt(3)
	ds_write_b128 v103, v[24:27]
	s_waitcnt vmcnt(2)
	ds_write_b128 v104, v[162:165]
	;; [unrolled: 2-line block ×4, first 2 shown]
	s_waitcnt lgkmcnt(0)
	s_barrier
	v_cvt_f32_f16_e32 v24, v86
	v_cvt_f32_f16_sdwa v25, v86 dst_sel:DWORD dst_unused:UNUSED_PAD src0_sel:WORD_1
	v_cvt_f32_f16_e32 v26, v87
	v_cvt_f32_f16_sdwa v27, v87 dst_sel:DWORD dst_unused:UNUSED_PAD src0_sel:WORD_1
	ds_read_u16 v164, v111 offset:272
	ds_read_u16 v165, v112 offset:272
	;; [unrolled: 1-line block ×6, first 2 shown]
	ds_read_u16 v87, v109
	ds_read_u16 v169, v109 offset:32
	ds_read_u16 v170, v109 offset:64
	;; [unrolled: 1-line block ×5, first 2 shown]
	v_pk_mul_f16 v177, v179, v69 op_sel_hi:[0,1]
	v_pk_mul_f16 v178, v179, v75 op_sel_hi:[0,1]
	;; [unrolled: 1-line block ×11, first 2 shown]
	v_pack_b32_f16 v52, v160, v59
	v_pack_b32_f16 v53, v180, v161
	v_cvt_f16_f32_e32 v59, v175
	s_waitcnt lgkmcnt(5)
	v_perm_b32 v87, v86, v87, s17
	ds_read_u16 v86, v108 offset:272
	ds_read_u16 v175, v107 offset:8704
	ds_read_u16 v160, v107
	ds_read_u16 v180, v107 offset:32
	ds_read_u16 v181, v107 offset:64
	;; [unrolled: 1-line block ×7, first 2 shown]
	s_waitcnt lgkmcnt(7)
	v_perm_b32 v86, v86, v160, s17
	v_accvgpr_write_b32 a0, v24
	v_accvgpr_write_b32 a1, v25
	;; [unrolled: 1-line block ×4, first 2 shown]
	v_cvt_f16_f32_e32 v174, v174
	v_cvt_f16_f32_e32 v63, v63
	v_mfma_f32_16x16x16f16 a[0:3], v[86:87], v[52:53], a[0:3]
	v_cvt_f16_f32_e32 v176, v176
	v_pk_mul_f16 v88, v179, v88 op_sel_hi:[0,1]
	v_pk_mul_f16 v72, v179, v72 op_sel_hi:[0,1]
	ds_read_u16 v187, v109 offset:192
	ds_read_u16 v188, v109 offset:224
	v_pk_mul_f16 v64, v179, v64 op_sel_hi:[0,1]
	v_cmp_lt_i32_e32 vcc, s76, v89
	s_and_b64 vcc, exec, vcc
	s_nop 2
	v_accvgpr_read_b32 v24, a0
	v_cvt_f16_f32_e32 v24, v24
	v_accvgpr_read_b32 v25, a1
	v_accvgpr_read_b32 v26, a2
	;; [unrolled: 1-line block ×3, first 2 shown]
	v_cvt_f16_f32_e32 v25, v25
	v_cvt_f16_f32_e32 v26, v26
	;; [unrolled: 1-line block ×3, first 2 shown]
	v_cvt_f32_f16_e32 v160, v24
	v_cvt_f32_f16_e32 v161, v25
	;; [unrolled: 1-line block ×4, first 2 shown]
	v_perm_b32 v27, v165, v168, s17
	v_perm_b32 v26, v164, v175, s17
	v_accvgpr_write_b32 a0, v160
	v_pack_b32_f16 v24, v174, v59
	v_pack_b32_f16 v25, v176, v63
	v_accvgpr_write_b32 a1, v161
	v_accvgpr_write_b32 a2, v162
	;; [unrolled: 1-line block ×3, first 2 shown]
	v_cvt_f32_f16_e32 v160, v88
	v_cvt_f32_f16_sdwa v161, v88 dst_sel:DWORD dst_unused:UNUSED_PAD src0_sel:WORD_1
	v_mfma_f32_16x16x16f16 a[0:3], v[26:27], v[24:25], a[0:3]
	v_cvt_f32_f16_e32 v162, v72
	v_cvt_f32_f16_sdwa v163, v72 dst_sel:DWORD dst_unused:UNUSED_PAD src0_sel:WORD_1
	v_perm_b32 v27, v167, v169, s17
	v_accvgpr_write_b32 a4, v160
	v_accvgpr_write_b32 a5, v161
	;; [unrolled: 1-line block ×4, first 2 shown]
	s_nop 3
	v_accvgpr_read_b32 v26, a0
	v_cvt_f16_f32_e32 v59, v26
	s_waitcnt lgkmcnt(8)
	v_perm_b32 v26, v166, v180, s17
	v_accvgpr_read_b32 v63, a1
	v_accvgpr_read_b32 v72, a2
	v_mfma_f32_16x16x16f16 a[4:7], v[26:27], v[52:53], a[4:7]
	v_cvt_f16_f32_e32 v63, v63
	v_cvt_f16_f32_e32 v72, v72
	s_nop 7
	s_nop 0
	v_accvgpr_read_b32 v26, a4
	v_accvgpr_read_b32 v27, a5
	;; [unrolled: 1-line block ×4, first 2 shown]
	v_cvt_f16_f32_e32 v26, v26
	v_cvt_f16_f32_e32 v27, v27
	;; [unrolled: 1-line block ×4, first 2 shown]
	v_cvt_f32_f16_e32 v160, v26
	v_cvt_f32_f16_e32 v161, v27
	v_cvt_f32_f16_e32 v162, v86
	v_cvt_f32_f16_e32 v163, v87
	ds_read_u16 v26, v115 offset:8704
	ds_read_u16 v86, v116 offset:272
	;; [unrolled: 1-line block ×8, first 2 shown]
	s_waitcnt lgkmcnt(4)
	v_perm_b32 v27, v87, v27, s17
	v_perm_b32 v26, v86, v26, s17
	v_accvgpr_read_b32 v86, a3
	v_accvgpr_write_b32 a0, v160
	v_accvgpr_write_b32 a1, v161
	v_accvgpr_write_b32 a2, v162
	v_accvgpr_write_b32 a3, v163
	v_cvt_f16_f32_e32 v87, v86
	v_pack_b32_f16 v86, v59, v63
	v_mfma_f32_16x16x16f16 a[0:3], v[26:27], v[24:25], a[0:3]
	v_cvt_f32_f16_e32 v160, v177
	v_cvt_f32_f16_sdwa v161, v177 dst_sel:DWORD dst_unused:UNUSED_PAD src0_sel:WORD_1
	v_cvt_f32_f16_e32 v162, v178
	v_cvt_f32_f16_sdwa v163, v178 dst_sel:DWORD dst_unused:UNUSED_PAD src0_sel:WORD_1
	s_waitcnt lgkmcnt(2)
	v_perm_b32 v27, v164, v170, s17
	v_pack_b32_f16 v87, v72, v87
	s_nop 3
	v_accvgpr_read_b32 v26, a0
	v_cvt_f16_f32_e32 v59, v26
	v_accvgpr_read_b32 v26, a1
	v_cvt_f16_f32_e32 v63, v26
	v_perm_b32 v26, v88, v181, s17
	v_accvgpr_read_b32 v167, a2
	v_accvgpr_read_b32 v88, a3
	v_accvgpr_write_b32 a0, v160
	v_accvgpr_write_b32 a1, v161
	;; [unrolled: 1-line block ×4, first 2 shown]
	v_cvt_f16_f32_e32 v164, v167
	v_cvt_f16_f32_e32 v167, v88
	v_mfma_f32_16x16x16f16 a[0:3], v[26:27], v[52:53], a[0:3]
	v_pack_b32_f16 v72, v164, v167
	s_nop 7
	s_nop 1
	v_accvgpr_read_b32 v26, a0
	v_accvgpr_read_b32 v27, a1
	v_cvt_f16_f32_e32 v26, v26
	v_cvt_f16_f32_e32 v27, v27
	v_accvgpr_read_b32 v88, a2
	v_accvgpr_read_b32 v160, a3
	v_cvt_f16_f32_e32 v88, v88
	v_cvt_f16_f32_e32 v163, v160
	v_cvt_f32_f16_e32 v160, v26
	v_cvt_f32_f16_e32 v161, v27
	ds_read_u16 v26, v123 offset:8704
	ds_read_u16 v27, v124 offset:272
	;; [unrolled: 1-line block ×8, first 2 shown]
	v_cvt_f32_f16_e32 v162, v88
	v_cvt_f32_f16_e32 v163, v163
	s_waitcnt lgkmcnt(6)
	v_perm_b32 v27, v27, v26, s17
	v_perm_b32 v26, v166, v165, s17
	v_accvgpr_write_b32 a0, v160
	v_accvgpr_write_b32 a1, v161
	;; [unrolled: 1-line block ×4, first 2 shown]
	v_cvt_f32_f16_e32 v160, v75
	v_pack_b32_f16 v88, v59, v63
	v_mfma_f32_16x16x16f16 a[0:3], v[26:27], v[24:25], a[0:3]
	v_cvt_f32_f16_sdwa v161, v75 dst_sel:DWORD dst_unused:UNUSED_PAD src0_sel:WORD_1
	v_cvt_f32_f16_e32 v162, v69
	v_cvt_f32_f16_sdwa v163, v69 dst_sel:DWORD dst_unused:UNUSED_PAD src0_sel:WORD_1
	s_waitcnt lgkmcnt(4)
	v_perm_b32 v27, v169, v171, s17
	v_accvgpr_write_b32 a4, v160
	v_accvgpr_write_b32 a5, v161
	;; [unrolled: 1-line block ×4, first 2 shown]
	s_nop 1
	v_accvgpr_read_b32 v26, a0
	v_cvt_f16_f32_e32 v59, v26
	v_perm_b32 v26, v168, v182, s17
	v_accvgpr_read_b32 v69, a2
	v_cvt_f16_f32_e32 v75, v69
	v_mfma_f32_16x16x16f16 a[4:7], v[26:27], v[52:53], a[4:7]
	v_accvgpr_read_b32 v63, a1
	v_cvt_f16_f32_e32 v63, v63
	s_nop 7
	s_nop 0
	v_accvgpr_read_b32 v26, a4
	v_cvt_f16_f32_e32 v26, v26
	v_accvgpr_read_b32 v27, a5
	v_accvgpr_read_b32 v69, a6
	;; [unrolled: 1-line block ×3, first 2 shown]
	v_cvt_f16_f32_e32 v27, v27
	v_cvt_f16_f32_e32 v69, v69
	;; [unrolled: 1-line block ×3, first 2 shown]
	v_cvt_f32_f16_e32 v160, v26
	v_cvt_f32_f16_e32 v161, v27
	;; [unrolled: 1-line block ×4, first 2 shown]
	s_waitcnt lgkmcnt(0)
	v_perm_b32 v27, v176, v175, s17
	v_perm_b32 v26, v174, v170, s17
	v_accvgpr_read_b32 v69, a3
	v_accvgpr_write_b32 a0, v160
	v_accvgpr_write_b32 a1, v161
	;; [unrolled: 1-line block ×4, first 2 shown]
	v_cvt_f16_f32_e32 v164, v69
	v_pack_b32_f16 v69, v59, v63
	v_mfma_f32_16x16x16f16 a[0:3], v[26:27], v[24:25], a[0:3]
	v_cvt_f32_f16_e32 v160, v68
	v_cvt_f32_f16_sdwa v161, v68 dst_sel:DWORD dst_unused:UNUSED_PAD src0_sel:WORD_1
	v_cvt_f32_f16_e32 v162, v67
	v_cvt_f32_f16_sdwa v163, v67 dst_sel:DWORD dst_unused:UNUSED_PAD src0_sel:WORD_1
	v_pack_b32_f16 v75, v75, v164
	s_nop 5
	v_accvgpr_read_b32 v26, a0
	v_cvt_f16_f32_e32 v59, v26
	v_accvgpr_read_b32 v26, a1
	v_cvt_f16_f32_e32 v63, v26
	ds_read_u16 v26, v131 offset:272
	ds_read_u16 v27, v132 offset:272
	;; [unrolled: 1-line block ×8, first 2 shown]
	s_waitcnt lgkmcnt(6)
	v_perm_b32 v27, v27, v172, s17
	v_perm_b32 v26, v26, v183, s17
	v_accvgpr_read_b32 v165, a2
	v_accvgpr_read_b32 v170, a3
	v_accvgpr_write_b32 a0, v160
	v_accvgpr_write_b32 a1, v161
	v_accvgpr_write_b32 a2, v162
	v_accvgpr_write_b32 a3, v163
	v_cvt_f16_f32_e32 v165, v165
	v_cvt_f16_f32_e32 v170, v170
	v_mfma_f32_16x16x16f16 a[0:3], v[26:27], v[52:53], a[0:3]
	s_nop 7
	s_nop 2
	v_accvgpr_read_b32 v26, a0
	v_accvgpr_read_b32 v160, a2
	v_cvt_f16_f32_e32 v26, v26
	v_accvgpr_read_b32 v27, a1
	v_cvt_f16_f32_e32 v162, v160
	;; [unrolled: 2-line block ×3, first 2 shown]
	v_cvt_f16_f32_e32 v163, v160
	v_cvt_f32_f16_e32 v160, v26
	v_cvt_f32_f16_e32 v162, v162
	;; [unrolled: 1-line block ×4, first 2 shown]
	s_waitcnt lgkmcnt(2)
	v_perm_b32 v27, v167, v166, s17
	v_perm_b32 v26, v68, v67, s17
	v_accvgpr_write_b32 a0, v160
	v_accvgpr_write_b32 a1, v161
	v_accvgpr_write_b32 a2, v162
	v_accvgpr_write_b32 a3, v163
	v_cvt_f32_f16_e32 v160, v76
	v_pack_b32_f16 v68, v59, v63
	v_mfma_f32_16x16x16f16 a[0:3], v[26:27], v[24:25], a[0:3]
	v_cvt_f32_f16_sdwa v161, v76 dst_sel:DWORD dst_unused:UNUSED_PAD src0_sel:WORD_1
	v_cvt_f32_f16_e32 v162, v70
	v_cvt_f32_f16_sdwa v163, v70 dst_sel:DWORD dst_unused:UNUSED_PAD src0_sel:WORD_1
	s_waitcnt lgkmcnt(0)
	v_perm_b32 v27, v169, v173, s17
	v_accvgpr_write_b32 a4, v160
	v_accvgpr_write_b32 a5, v161
	;; [unrolled: 1-line block ×4, first 2 shown]
	v_pack_b32_f16 v67, v165, v170
	s_nop 0
	v_accvgpr_read_b32 v26, a0
	v_cvt_f16_f32_e32 v59, v26
	v_perm_b32 v26, v168, v184, s17
	v_accvgpr_read_b32 v70, a2
	v_cvt_f16_f32_e32 v76, v70
	v_mfma_f32_16x16x16f16 a[4:7], v[26:27], v[52:53], a[4:7]
	v_accvgpr_read_b32 v63, a1
	v_cvt_f16_f32_e32 v63, v63
	s_nop 7
	s_nop 0
	v_accvgpr_read_b32 v26, a4
	v_accvgpr_read_b32 v27, a5
	;; [unrolled: 1-line block ×3, first 2 shown]
	v_cvt_f16_f32_e32 v26, v26
	v_cvt_f16_f32_e32 v27, v27
	;; [unrolled: 1-line block ×3, first 2 shown]
	v_accvgpr_read_b32 v160, a7
	v_cvt_f16_f32_e32 v163, v160
	v_cvt_f32_f16_e32 v160, v26
	v_cvt_f32_f16_e32 v161, v27
	;; [unrolled: 1-line block ×3, first 2 shown]
	ds_read_u16 v26, v139 offset:8704
	ds_read_u16 v70, v140 offset:272
	ds_read_u16 v27, v141 offset:8704
	ds_read_u16 v164, v142 offset:272
	ds_read_u16 v165, v143 offset:272
	ds_read_u16 v166, v144 offset:272
	ds_read_u16 v167, v145 offset:8704
	ds_read_u16 v168, v146 offset:272
	v_cvt_f32_f16_e32 v163, v163
	s_waitcnt lgkmcnt(4)
	v_perm_b32 v27, v164, v27, s17
	v_perm_b32 v26, v70, v26, s17
	v_accvgpr_read_b32 v70, a3
	v_accvgpr_write_b32 a0, v160
	v_accvgpr_write_b32 a1, v161
	;; [unrolled: 1-line block ×4, first 2 shown]
	v_cvt_f16_f32_e32 v164, v70
	v_pack_b32_f16 v70, v59, v63
	v_mfma_f32_16x16x16f16 a[0:3], v[26:27], v[24:25], a[0:3]
	v_cvt_f32_f16_e32 v160, v73
	v_cvt_f32_f16_sdwa v161, v73 dst_sel:DWORD dst_unused:UNUSED_PAD src0_sel:WORD_1
	v_cvt_f32_f16_e32 v162, v74
	v_cvt_f32_f16_sdwa v163, v74 dst_sel:DWORD dst_unused:UNUSED_PAD src0_sel:WORD_1
	s_waitcnt lgkmcnt(2)
	v_perm_b32 v27, v166, v187, s17
	v_pack_b32_f16 v76, v76, v164
	s_nop 3
	v_accvgpr_read_b32 v26, a0
	v_cvt_f16_f32_e32 v59, v26
	v_accvgpr_read_b32 v26, a1
	v_cvt_f16_f32_e32 v63, v26
	v_perm_b32 v26, v165, v185, s17
	v_accvgpr_read_b32 v169, a2
	v_accvgpr_read_b32 v74, a3
	v_accvgpr_write_b32 a0, v160
	v_accvgpr_write_b32 a1, v161
	v_accvgpr_write_b32 a2, v162
	v_accvgpr_write_b32 a3, v163
	v_cvt_f16_f32_e32 v165, v74
	v_cvt_f16_f32_e32 v73, v169
	v_mfma_f32_16x16x16f16 a[0:3], v[26:27], v[52:53], a[0:3]
	v_pack_b32_f16 v73, v73, v165
	s_nop 7
	s_nop 1
	v_accvgpr_read_b32 v26, a0
	v_accvgpr_read_b32 v27, a1
	v_cvt_f16_f32_e32 v26, v26
	v_cvt_f16_f32_e32 v27, v27
	v_accvgpr_read_b32 v74, a2
	v_accvgpr_read_b32 v160, a3
	v_cvt_f16_f32_e32 v74, v74
	v_cvt_f16_f32_e32 v163, v160
	v_cvt_f32_f16_e32 v160, v26
	v_cvt_f32_f16_e32 v161, v27
	ds_read_u16 v26, v147 offset:8704
	ds_read_u16 v27, v148 offset:272
	;; [unrolled: 1-line block ×8, first 2 shown]
	v_cvt_f32_f16_e32 v162, v74
	v_cvt_f32_f16_e32 v163, v163
	s_waitcnt lgkmcnt(6)
	v_perm_b32 v27, v27, v26, s17
	v_perm_b32 v26, v168, v167, s17
	v_accvgpr_write_b32 a0, v160
	v_accvgpr_write_b32 a1, v161
	;; [unrolled: 1-line block ×4, first 2 shown]
	v_cvt_f32_f16_e32 v160, v71
	v_pack_b32_f16 v74, v59, v63
	v_mfma_f32_16x16x16f16 a[0:3], v[26:27], v[24:25], a[0:3]
	v_cvt_f32_f16_sdwa v161, v71 dst_sel:DWORD dst_unused:UNUSED_PAD src0_sel:WORD_1
	v_cvt_f32_f16_e32 v162, v64
	v_cvt_f32_f16_sdwa v163, v64 dst_sel:DWORD dst_unused:UNUSED_PAD src0_sel:WORD_1
	s_waitcnt lgkmcnt(4)
	v_perm_b32 v27, v169, v188, s17
	v_accvgpr_write_b32 a4, v160
	v_accvgpr_write_b32 a5, v161
	;; [unrolled: 1-line block ×4, first 2 shown]
	s_waitcnt lgkmcnt(0)
	s_barrier
	v_accvgpr_read_b32 v26, a0
	v_cvt_f16_f32_e32 v59, v26
	v_perm_b32 v26, v166, v186, s17
	v_accvgpr_read_b32 v63, a1
	v_accvgpr_read_b32 v64, a2
	v_mfma_f32_16x16x16f16 a[4:7], v[26:27], v[52:53], a[4:7]
	v_cvt_f16_f32_e32 v63, v63
	v_pack_b32_f16 v71, v59, v63
	s_nop 7
	s_nop 0
	v_accvgpr_read_b32 v26, a4
	v_cvt_f16_f32_e32 v26, v26
	v_accvgpr_read_b32 v27, a5
	v_accvgpr_read_b32 v52, a6
	v_accvgpr_read_b32 v53, a7
	v_cvt_f16_f32_e32 v27, v27
	v_cvt_f16_f32_e32 v52, v52
	;; [unrolled: 1-line block ×3, first 2 shown]
	v_cvt_f32_f16_e32 v160, v26
	v_cvt_f32_f16_e32 v161, v27
	;; [unrolled: 1-line block ×4, first 2 shown]
	v_perm_b32 v27, v173, v172, s17
	v_perm_b32 v26, v171, v170, s17
	v_accvgpr_read_b32 v53, a3
	v_accvgpr_write_b32 a0, v160
	v_accvgpr_write_b32 a1, v161
	;; [unrolled: 1-line block ×4, first 2 shown]
	v_cvt_f16_f32_e32 v52, v64
	v_cvt_f16_f32_e32 v53, v53
	v_mfma_f32_16x16x16f16 a[0:3], v[26:27], v[24:25], a[0:3]
	v_pack_b32_f16 v53, v52, v53
	s_nop 7
	s_nop 1
	v_accvgpr_read_b32 v24, a0
	v_accvgpr_read_b32 v25, a1
	;; [unrolled: 1-line block ×4, first 2 shown]
	v_cvt_f16_f32_e32 v24, v24
	v_cvt_f16_f32_e32 v25, v25
	;; [unrolled: 1-line block ×4, first 2 shown]
	v_pack_b32_f16 v52, v24, v25
	v_pack_b32_f16 v64, v26, v27
	s_cbranch_vccz .LBB0_367
; %bb.365:                              ;   in Loop: Header=BB0_364 Depth=1
	v_mov_b32_e32 v160, v66
	v_mov_b32_e32 v66, v30
	s_ashr_i32 s3, s2, 31
	s_and_saveexec_b64 s[4:5], s[0:1]
	s_cbranch_execnz .LBB0_363
	s_branch .LBB0_364
.LBB0_366:
	v_mov_b32_e32 v66, 0
	v_mov_b32_e32 v30, 0xfeffffff
	;; [unrolled: 1-line block ×17, first 2 shown]
.LBB0_367:
	s_lshl_b32 s0, s76, 6
	s_ashr_i32 s1, s0, 31
	v_cmp_gt_u32_e32 vcc, 2, v77
	s_and_saveexec_b64 s[2:3], vcc
	s_cbranch_execz .LBB0_369
; %bb.368:
	s_lshl_b64 s[4:5], s[0:1], 1
	s_add_u32 s1, s11, s4
	v_add_u32_e32 v24, s6, v57
	s_addc_u32 s11, s12, s5
	v_lshl_or_b32 v24, v24, 1, v78
	v_readlane_b32 s4, v255, 4
	v_mul_hi_u32 v25, s4, v24
	v_readlane_b32 s5, v255, 5
	v_add_u32_e32 v25, v24, v25
	v_lshrrev_b32_e32 v25, s5, v25
	v_mul_lo_u32 v25, v25, s36
	v_sub_u32_e32 v24, v24, v25
	v_lshlrev_b32_e32 v25, 2, v54
	v_and_b32_e32 v26, 0x7c, v25
	v_mad_i64_i32 v[24:25], s[4:5], v24, s46, 0
	v_lshlrev_b64 v[24:25], 1, v[24:25]
	v_mov_b32_e32 v27, s11
	v_add_co_u32_e32 v24, vcc, s1, v24
	v_addc_co_u32_e32 v25, vcc, v27, v25, vcc
	v_add_co_u32_e32 v24, vcc, v24, v26
	v_addc_co_u32_e32 v25, vcc, 0, v25, vcc
	global_load_dword v24, v[24:25], off
	v_mul_u32_u24_e32 v25, 0x90, v77
	v_add3_u32 v25, 0, v25, v26
	s_waitcnt vmcnt(0)
	ds_write_b32 v25, v24 offset:17408
.LBB0_369:
	s_or_b64 exec, exec, s[2:3]
	s_mul_hi_i32 s3, s0, s38
	s_mul_i32 s2, s0, s38
	s_lshl_b64 s[2:3], s[2:3], 2
	s_add_u32 s1, s9, s2
	v_ashrrev_i32_e32 v29, 31, v28
	s_addc_u32 s2, s10, s3
	v_lshlrev_b64 v[24:25], 2, v[28:29]
	v_mov_b32_e32 v28, s2
	v_add_co_u32_e32 v29, vcc, s1, v24
	v_lshlrev_b32_e32 v24, 4, v54
	v_mul_lo_u32 v26, s38, v85
	v_addc_co_u32_e32 v25, vcc, v28, v25, vcc
	v_and_b32_e32 v40, 0x70, v24
	v_ashrrev_i32_e32 v27, 31, v26
	v_add_co_u32_e32 v36, vcc, v29, v40
	v_addc_co_u32_e32 v37, vcc, 0, v25, vcc
	v_lshlrev_b64 v[26:27], 2, v[26:27]
	v_mov_b32_e32 v25, s2
	v_add_co_u32_e32 v26, vcc, s1, v26
	v_addc_co_u32_e32 v25, vcc, v25, v27, vcc
	v_add_co_u32_e32 v38, vcc, v26, v40
	v_addc_co_u32_e32 v39, vcc, 0, v25, vcc
	global_load_dwordx4 v[26:29], v[36:37], off offset:256
	global_load_dwordx4 v[32:35], v[38:39], off offset:256
	v_and_b32_e32 v59, 16, v202
	s_movk_i32 s4, 0x110
	v_mul_u32_u24_e32 v39, 0x110, v83
	v_mad_u32_u24 v41, v56, s4, 0
	v_mul_u32_u24_e32 v42, 0x110, v59
	v_mul_u32_u24_e32 v38, 0x110, v85
	v_add3_u32 v43, 0, v39, v40
	v_add3_u32 v63, v41, v82, v42
	;; [unrolled: 1-line block ×3, first 2 shown]
	v_add_u32_e32 v77, 0x2000, v63
	v_lshl_add_u32 v25, v57, 2, v84
	v_mul_lo_u32 v36, s38, v25
	v_ashrrev_i32_e32 v37, 31, v36
	v_lshlrev_b64 v[38:39], 2, v[36:37]
	s_lshl_b32 s3, s38, 4
	v_mov_b32_e32 v41, s2
	v_add_u32_e32 v36, s3, v36
	v_ashrrev_i32_e32 v37, 31, v36
	v_mov_b32_e32 v42, s2
	v_mov_b32_e32 v48, s2
	s_mul_hi_i32 s11, s0, s34
	s_mul_i32 s10, s0, s34
	s_lshl_b64 s[10:11], s[10:11], 2
	s_add_u32 s0, s7, s10
	s_addc_u32 s5, s8, s11
	s_lshl_b32 s6, s34, 4
	s_waitcnt vmcnt(1)
	ds_write_b128 v43, v[26:29]
	s_waitcnt vmcnt(0)
	ds_write_b128 v40, v[32:35]
	s_waitcnt lgkmcnt(0)
	s_barrier
	ds_read2_b64 v[26:29], v63 offset1:4
	ds_read2_b64 v[32:35], v77 offset0:64 offset1:68
	s_waitcnt lgkmcnt(1)
	v_mfma_f32_16x16x16f16 a[0:3], v[26:27], v[20:21], 0
	v_add_co_u32_e32 v27, vcc, s1, v38
	v_addc_co_u32_e32 v38, vcc, v41, v39, vcc
	v_add_co_u32_e32 v44, vcc, v27, v81
	v_addc_co_u32_e32 v45, vcc, 0, v38, vcc
	s_waitcnt lgkmcnt(0)
	v_mfma_f32_16x16x16f16 a[4:7], v[32:33], v[20:21], 0
	v_lshlrev_b64 v[20:21], 2, v[36:37]
	v_add_co_u32_e32 v32, vcc, s1, v20
	v_add_u32_e32 v40, s3, v36
	v_addc_co_u32_e32 v33, vcc, v42, v21, vcc
	v_ashrrev_i32_e32 v41, 31, v40
	v_add_co_u32_e32 v46, vcc, v32, v81
	v_lshlrev_b64 v[20:21], 2, v[40:41]
	v_addc_co_u32_e32 v47, vcc, 0, v33, vcc
	v_mov_b32_e32 v43, s2
	v_add_co_u32_e32 v32, vcc, s1, v20
	v_add_u32_e32 v26, s3, v40
	v_addc_co_u32_e32 v33, vcc, v43, v21, vcc
	v_ashrrev_i32_e32 v27, 31, v26
	v_mfma_f32_16x16x16f16 a[0:3], v[28:29], v[22:23], a[0:3]
	v_lshlrev_b64 v[20:21], 2, v[26:27]
	ds_read2_b64 v[26:29], v63 offset0:8 offset1:12
	s_movk_i32 s2, 0x4400
	s_mov_b32 s3, 0x3fb8aa3b
	v_mfma_f32_16x16x16f16 a[4:7], v[34:35], v[22:23], a[4:7]
	v_add_co_u32_e32 v22, vcc, v32, v81
	v_addc_co_u32_e32 v23, vcc, 0, v33, vcc
	v_add_co_u32_e32 v20, vcc, s1, v20
	v_addc_co_u32_e32 v21, vcc, v48, v21, vcc
	v_add_co_u32_e32 v20, vcc, v20, v81
	ds_read2_b64 v[32:35], v77 offset0:72 offset1:76
	v_addc_co_u32_e32 v21, vcc, 0, v21, vcc
	s_waitcnt lgkmcnt(0)
	s_barrier
	global_load_dwordx4 v[36:39], v[44:45], off
	global_load_dwordx4 v[40:43], v[46:47], off
	s_nop 0
	global_load_dwordx4 v[44:47], v[22:23], off
	global_load_dwordx4 v[48:51], v[20:21], off
	v_mfma_f32_16x16x16f16 a[0:3], v[26:27], v[16:17], a[0:3]
	v_mad_u32_u24 v20, v25, s4, 0
	v_add_u32_e32 v21, 0x1100, v20
	v_add_u32_e32 v22, 0x2200, v20
	;; [unrolled: 1-line block ×5, first 2 shown]
	s_movk_i32 s1, 0x90
	v_mfma_f32_16x16x16f16 a[4:7], v[32:33], v[16:17], a[4:7]
	v_add_u32_e32 v16, v20, v81
	v_add_u32_e32 v17, v21, v81
	s_waitcnt vmcnt(3)
	ds_write_b128 v16, v[36:39]
	s_waitcnt vmcnt(2)
	ds_write_b128 v17, v[40:43]
	;; [unrolled: 2-line block ×4, first 2 shown]
	v_mfma_f32_16x16x16f16 a[0:3], v[28:29], v[18:19], a[0:3]
	s_waitcnt lgkmcnt(0)
	s_barrier
	ds_read2_b64 v[26:29], v77 offset0:64 offset1:68
	v_and_b32_e32 v46, 0xf0, v24
	v_mov_b32_e32 v24, s5
	v_mfma_f32_16x16x16f16 a[4:7], v[34:35], v[18:19], a[4:7]
	ds_read2_b64 v[16:19], v63 offset1:4
	s_waitcnt lgkmcnt(0)
	v_mfma_f32_16x16x16f16 a[0:3], v[16:17], v[12:13], a[0:3]
	v_mfma_f32_16x16x16f16 a[4:7], v[26:27], v[12:13], a[4:7]
	;; [unrolled: 1-line block ×3, first 2 shown]
	ds_read2_b64 v[16:19], v77 offset0:72 offset1:76
	v_mfma_f32_16x16x16f16 a[4:7], v[28:29], v[14:15], a[4:7]
	ds_read2_b64 v[12:15], v63 offset0:8 offset1:12
	v_mov_b32_e32 v28, 0x7f800000
	s_waitcnt lgkmcnt(0)
	v_mfma_f32_16x16x16f16 a[0:3], v[12:13], v[8:9], a[0:3]
	v_mfma_f32_16x16x16f16 a[4:7], v[16:17], v[8:9], a[4:7]
	;; [unrolled: 1-line block ×3, first 2 shown]
	ds_read2_b64 v[12:15], v77 offset0:80 offset1:84
	v_mfma_f32_16x16x16f16 a[4:7], v[18:19], v[10:11], a[4:7]
	ds_read2_b64 v[8:11], v63 offset0:16 offset1:20
	v_mbcnt_hi_u32_b32 v18, -1, v79
	s_waitcnt lgkmcnt(0)
	v_mfma_f32_16x16x16f16 a[0:3], v[8:9], v[4:5], a[0:3]
	v_mfma_f32_16x16x16f16 a[4:7], v[12:13], v[4:5], a[4:7]
	v_and_b32_e32 v4, 0xfc, v80
	v_add_u32_e32 v12, v4, v59
	v_add_u16_e32 v4, v4, v59
	v_lshrrev_b16_e32 v16, 1, v4
	v_mad_u32_u24 v13, v55, s1, 0
	s_mov_b32 s1, 0xc2ce8ed0
	v_mfma_f32_16x16x16f16 a[0:3], v[10:11], v[6:7], a[0:3]
	ds_read2_b64 v[8:11], v63 offset0:24 offset1:28
	v_mfma_f32_16x16x16f16 a[4:7], v[14:15], v[6:7], a[4:7]
	ds_read2_b64 v[4:7], v77 offset0:88 offset1:92
	v_and_b32_e32 v14, 64, v18
	v_xor_b32_e32 v15, 32, v18
	s_waitcnt lgkmcnt(0)
	s_barrier
	v_mfma_f32_16x16x16f16 a[0:3], v[8:9], v[0:1], a[0:3]
	v_add_u32_e32 v9, 64, v14
	v_lshl_add_u32 v8, v12, 1, v13
	v_lshlrev_b32_e32 v12, 2, v16
	v_cmp_lt_i32_e32 vcc, v15, v9
	v_add_u32_e32 v8, 0x4400, v8
	v_mfma_f32_16x16x16f16 a[4:7], v[4:5], v[0:1], a[4:7]
	v_cndmask_b32_e32 v4, v18, v15, vcc
	v_add3_u32 v5, v13, v12, s2
	ds_read2_b32 v[0:1], v8 offset0:16 offset1:17
	v_lshlrev_b32_e32 v8, 2, v4
	ds_read2_b32 v[4:5], v5 offset1:1
	s_mov_b32 s2, 0x42b17218
	s_waitcnt lgkmcnt(1)
	v_cvt_f32_f16_e32 v12, v1
	v_mfma_f32_16x16x16f16 a[0:3], v[10:11], v[2:3], a[0:3]
	s_waitcnt lgkmcnt(0)
	v_cvt_f32_f16_e32 v16, v4
	v_cvt_f32_f16_sdwa v17, v4 dst_sel:DWORD dst_unused:UNUSED_PAD src0_sel:WORD_1
	v_cvt_f32_f16_e32 v14, v5
	v_cvt_f32_f16_sdwa v15, v5 dst_sel:DWORD dst_unused:UNUSED_PAD src0_sel:WORD_1
	;; [unrolled: 2-line block ×3, first 2 shown]
	v_cvt_f32_f16_sdwa v13, v1 dst_sel:DWORD dst_unused:UNUSED_PAD src0_sel:WORD_1
	v_mfma_f32_16x16x16f16 a[4:7], v[6:7], v[2:3], a[4:7]
	s_nop 1
	v_accvgpr_read_b32 v7, a1
	v_accvgpr_read_b32 v6, a0
	;; [unrolled: 1-line block ×4, first 2 shown]
	v_pk_add_f32 v[6:7], v[6:7], v[16:17]
	v_pk_add_f32 v[2:3], v[2:3], v[14:15]
	v_add_f32_e32 v16, 0x40051340, v6
	v_add_f32_e32 v17, 0x40051340, v7
	s_nop 0
	v_accvgpr_read_b32 v4, a4
	v_accvgpr_read_b32 v5, a5
	;; [unrolled: 1-line block ×4, first 2 shown]
	v_pk_add_f32 v[10:11], v[4:5], v[10:11]
	v_add_f32_e32 v14, 0x40051340, v2
	v_add_f32_e32 v15, 0x40051340, v3
	v_max3_f32 v16, v30, v16, v17
	v_pk_add_f32 v[0:1], v[0:1], v[12:13]
	v_add_f32_e32 v12, 0x40051340, v10
	v_add_f32_e32 v13, 0x40051340, v11
	v_max3_f32 v14, v16, v14, v15
	v_add_f32_e32 v4, 0x40051340, v0
	v_add_f32_e32 v5, 0x40051340, v1
	v_max3_f32 v12, v14, v12, v13
	v_max3_f32 v4, v12, v4, v5
	ds_bpermute_b32 v12, v8, v4
	v_xor_b32_e32 v5, 16, v18
	v_cmp_lt_i32_e32 vcc, v5, v9
	v_cndmask_b32_e32 v5, v18, v5, vcc
	v_lshlrev_b32_e32 v5, 2, v5
	s_waitcnt lgkmcnt(0)
	v_max_f32_e32 v9, v12, v12
	v_max_f32_e32 v4, v4, v9
	ds_bpermute_b32 v9, v5, v4
	s_waitcnt lgkmcnt(0)
	v_max_f32_e32 v9, v9, v9
	v_max_f32_e32 v4, v4, v9
	v_pk_add_f32 v[6:7], v[6:7], v[4:5] op_sel_hi:[1,0] neg_lo:[0,1] neg_hi:[0,1]
	v_mul_f32_e32 v9, 0x3fb8aa3b, v7
	v_pk_add_f32 v[12:13], v[2:3], v[4:5] op_sel_hi:[1,0] neg_lo:[0,1] neg_hi:[0,1]
	v_pk_add_f32 v[2:3], v[10:11], v[4:5] op_sel_hi:[1,0] neg_lo:[0,1] neg_hi:[0,1]
	v_mul_f32_e32 v10, 0x3fb8aa3b, v6
	v_fma_f32 v15, v7, s3, -v9
	v_rndne_f32_e32 v16, v9
	v_mul_f32_e32 v11, 0x3fb8aa3b, v13
	v_fma_f32 v17, v6, s3, -v10
	v_rndne_f32_e32 v18, v10
	v_fmac_f32_e32 v15, 0x32a5705f, v7
	v_sub_f32_e32 v9, v9, v16
	v_fma_f32 v19, v13, s3, -v11
	v_rndne_f32_e32 v26, v11
	v_fmac_f32_e32 v17, 0x32a5705f, v6
	v_sub_f32_e32 v10, v10, v18
	v_add_f32_e32 v9, v9, v15
	v_cvt_i32_f32_e32 v16, v16
	v_fmac_f32_e32 v19, 0x32a5705f, v13
	v_sub_f32_e32 v11, v11, v26
	v_add_f32_e32 v10, v10, v17
	v_exp_f32_e32 v9, v9
	v_cvt_i32_f32_e32 v18, v18
	v_add_f32_e32 v11, v11, v19
	v_exp_f32_e32 v10, v10
	v_cvt_i32_f32_e32 v26, v26
	v_exp_f32_e32 v11, v11
	v_ldexp_f32 v9, v9, v16
	v_cmp_ngt_f32_e32 vcc, s1, v7
	v_ldexp_f32 v10, v10, v18
	v_cndmask_b32_e32 v9, 0, v9, vcc
	v_cmp_ngt_f32_e32 vcc, s1, v6
	v_mul_f32_e32 v14, 0x3fb8aa3b, v12
	v_ldexp_f32 v11, v11, v26
	v_cndmask_b32_e32 v10, 0, v10, vcc
	v_cmp_ngt_f32_e32 vcc, s1, v13
	v_fma_f32 v27, v12, s3, -v14
	v_rndne_f32_e32 v29, v14
	v_cndmask_b32_e32 v11, 0, v11, vcc
	v_cmp_nlt_f32_e32 vcc, s2, v7
	v_fmac_f32_e32 v27, 0x32a5705f, v12
	v_sub_f32_e32 v14, v14, v29
	v_cndmask_b32_e32 v9, v28, v9, vcc
	v_cmp_nlt_f32_e32 vcc, s2, v6
	v_mul_f32_e32 v6, 0x3fb8aa3b, v3
	v_add_f32_e32 v14, v14, v27
	v_cndmask_b32_e32 v10, v28, v10, vcc
	v_cmp_nlt_f32_e32 vcc, s2, v13
	v_fma_f32 v7, v3, s3, -v6
	v_rndne_f32_e32 v13, v6
	v_cvt_i32_f32_e32 v29, v29
	v_exp_f32_e32 v14, v14
	v_fmac_f32_e32 v7, 0x32a5705f, v3
	v_sub_f32_e32 v6, v6, v13
	v_add_f32_e32 v6, v6, v7
	v_exp_f32_e32 v6, v6
	v_cvt_i32_f32_e32 v7, v13
	v_ldexp_f32 v14, v14, v29
	v_cndmask_b32_e32 v11, v28, v11, vcc
	v_cmp_ngt_f32_e32 vcc, s1, v12
	v_cndmask_b32_e32 v13, 0, v14, vcc
	v_cmp_nlt_f32_e32 vcc, s2, v12
	v_cndmask_b32_e32 v12, v28, v13, vcc
	v_ldexp_f32 v13, v6, v7
	v_mul_lo_u32 v6, s34, v25
	v_ashrrev_i32_e32 v7, 31, v6
	v_lshlrev_b64 v[14:15], 2, v[6:7]
	v_mov_b32_e32 v7, s5
	v_add_co_u32_e32 v14, vcc, s0, v14
	v_addc_co_u32_e32 v7, vcc, v7, v15, vcc
	v_add_co_u32_e32 v14, vcc, v14, v46
	v_add_u32_e32 v6, s6, v6
	v_addc_co_u32_e32 v15, vcc, 0, v7, vcc
	v_ashrrev_i32_e32 v7, 31, v6
	v_lshlrev_b64 v[16:17], 2, v[6:7]
	v_mov_b32_e32 v7, s5
	v_add_co_u32_e32 v16, vcc, s0, v16
	v_addc_co_u32_e32 v7, vcc, v7, v17, vcc
	v_add_co_u32_e32 v16, vcc, v16, v46
	v_add_u32_e32 v6, s6, v6
	v_addc_co_u32_e32 v17, vcc, 0, v7, vcc
	v_ashrrev_i32_e32 v7, 31, v6
	v_lshlrev_b64 v[18:19], 2, v[6:7]
	v_mov_b32_e32 v7, s5
	v_add_co_u32_e32 v18, vcc, s0, v18
	v_addc_co_u32_e32 v7, vcc, v7, v19, vcc
	v_add_co_u32_e32 v18, vcc, v18, v46
	v_add_u32_e32 v6, s6, v6
	v_addc_co_u32_e32 v19, vcc, 0, v7, vcc
	v_ashrrev_i32_e32 v7, 31, v6
	v_lshlrev_b64 v[6:7], 2, v[6:7]
	v_add_co_u32_e32 v6, vcc, s0, v6
	v_addc_co_u32_e32 v7, vcc, v24, v7, vcc
	v_add_co_u32_e32 v6, vcc, v6, v46
	v_addc_co_u32_e32 v7, vcc, 0, v7, vcc
	global_load_dwordx4 v[24:27], v[14:15], off
	global_load_dwordx4 v[32:35], v[16:17], off
	;; [unrolled: 1-line block ×4, first 2 shown]
	v_mul_f32_e32 v29, 0x3fb8aa3b, v2
	v_fma_f32 v44, v2, s3, -v29
	v_rndne_f32_e32 v45, v29
	v_fmac_f32_e32 v44, 0x32a5705f, v2
	v_sub_f32_e32 v6, v29, v45
	v_add_f32_e32 v6, v6, v44
	v_exp_f32_e32 v6, v6
	v_cvt_i32_f32_e32 v7, v45
	v_cmp_ngt_f32_e32 vcc, s1, v3
	v_pk_add_f32 v[0:1], v[0:1], v[4:5] op_sel_hi:[1,0] neg_lo:[0,1] neg_hi:[0,1]
	v_cndmask_b32_e32 v13, 0, v13, vcc
	v_cmp_nlt_f32_e32 vcc, s2, v3
	v_ldexp_f32 v3, v6, v7
	v_mul_f32_e32 v6, 0x3fb8aa3b, v1
	v_fma_f32 v7, v1, s3, -v6
	v_rndne_f32_e32 v14, v6
	v_fmac_f32_e32 v7, 0x32a5705f, v1
	v_sub_f32_e32 v6, v6, v14
	v_add_f32_e32 v6, v6, v7
	v_exp_f32_e32 v6, v6
	v_cvt_i32_f32_e32 v7, v14
	v_cndmask_b32_e32 v13, v28, v13, vcc
	v_cmp_ngt_f32_e32 vcc, s1, v2
	v_cndmask_b32_e32 v3, 0, v3, vcc
	v_cmp_nlt_f32_e32 vcc, s2, v2
	v_cndmask_b32_e32 v15, v28, v3, vcc
	v_mul_f32_e32 v3, 0x3fb8aa3b, v0
	v_ldexp_f32 v2, v6, v7
	v_fma_f32 v6, v0, s3, -v3
	v_rndne_f32_e32 v7, v3
	v_fmac_f32_e32 v6, 0x32a5705f, v0
	v_sub_f32_e32 v3, v3, v7
	v_add_f32_e32 v3, v3, v6
	v_cvt_i32_f32_e32 v6, v7
	v_sub_f32_e32 v7, v30, v4
	v_mul_f32_e32 v14, 0x3fb8aa3b, v7
	v_fma_f32 v16, v7, s3, -v14
	v_rndne_f32_e32 v17, v14
	v_fmac_f32_e32 v16, 0x32a5705f, v7
	v_sub_f32_e32 v14, v14, v17
	v_add_f32_e32 v14, v14, v16
	v_exp_f32_e32 v14, v14
	v_cvt_i32_f32_e32 v17, v17
	v_cmp_ngt_f32_e32 vcc, s1, v1
	v_cndmask_b32_e32 v2, 0, v2, vcc
	v_exp_f32_e32 v3, v3
	v_cmp_nlt_f32_e32 vcc, s2, v1
	v_cndmask_b32_e32 v16, v28, v2, vcc
	v_ldexp_f32 v2, v14, v17
	v_cmp_ngt_f32_e32 vcc, s1, v7
	v_cndmask_b32_e32 v2, 0, v2, vcc
	v_cmp_nlt_f32_e32 vcc, s2, v7
	s_mov_b32 s0, 0xc1a00000
	v_cndmask_b32_e32 v2, v28, v2, vcc
	v_cmp_le_f32_e32 vcc, s0, v7
	v_ldexp_f32 v1, v3, v6
	v_cndmask_b32_e32 v14, 0, v2, vcc
	v_cmp_ngt_f32_e32 vcc, s1, v0
	v_cndmask_b32_e32 v1, 0, v1, vcc
	v_cmp_nlt_f32_e32 vcc, s2, v0
	v_cvt_f16_f32_e32 v0, v9
	v_cvt_f16_f32_e32 v2, v10
	;; [unrolled: 1-line block ×5, first 2 shown]
	v_pack_b32_f16 v6, v2, v0
	v_add_u32_e32 v0, v20, v46
	s_movk_i32 s1, 0x220
	v_pack_b32_f16 v7, v7, v3
	v_add_u32_e32 v2, v21, v46
	v_add_u32_e32 v3, v22, v46
	;; [unrolled: 1-line block ×3, first 2 shown]
	s_waitcnt vmcnt(3)
	ds_write_b128 v0, v[24:27]
	s_waitcnt vmcnt(2)
	ds_write_b128 v2, v[32:35]
	;; [unrolled: 2-line block ×4, first 2 shown]
	v_mad_u32_u24 v0, v62, s1, 0
	v_cndmask_b32_e32 v17, v28, v1, vcc
	v_pk_mul_f16 v28, v18, v87 op_sel_hi:[0,1]
	v_mul_u32_u24_e32 v20, 0x110, v58
	v_mul_u32_u24_e32 v22, 0x110, v65
	v_add_u32_e32 v23, v0, v60
	v_or_b32_e32 v21, v20, v56
	v_or_b32_e32 v29, v22, v56
	v_lshlrev_b32_e32 v20, 1, v20
	v_lshlrev_b32_e32 v22, 1, v22
	v_cvt_f32_f16_e32 v2, v28
	v_cvt_f32_f16_sdwa v3, v28 dst_sel:DWORD dst_unused:UNUSED_PAD src0_sel:WORD_1
	v_add_u32_e32 v28, 0x2200, v23
	v_add_u32_e32 v32, 32, v23
	v_lshlrev_b32_e32 v19, 1, v21
	v_lshlrev_b32_e32 v21, 1, v29
	v_add_u32_e32 v27, v23, v22
	v_add_u32_e32 v29, v28, v20
	;; [unrolled: 1-line block ×5, first 2 shown]
	v_pk_mul_f16 v1, v18, v86 op_sel_hi:[0,1]
	s_waitcnt lgkmcnt(0)
	s_barrier
	v_add_u32_e32 v26, v23, v20
	v_add_u32_e32 v24, v0, v21
	s_mov_b32 s0, 0x5040100
	ds_read_u16 v34, v29 offset:272
	ds_read_u16 v35, v28 offset:272
	ds_read_u16 v33, v33 offset:272
	ds_read_u16 v32, v32 offset:272
	ds_read_u16 v27, v27 offset:272
	ds_read_u16 v36, v24 offset:8704
	ds_read_u16 v28, v24
	ds_read_u16 v37, v24 offset:32
	ds_read_u16 v38, v24 offset:64
	ds_read_u16 v39, v24 offset:96
	ds_read_u16 v40, v24 offset:128
	ds_read_u16 v41, v24 offset:160
	v_add_u32_e32 v25, v0, v19
	v_cvt_f32_f16_e32 v0, v1
	s_waitcnt lgkmcnt(5)
	v_perm_b32 v27, v27, v28, s0
	ds_read_u16 v26, v26 offset:272
	ds_read_u16 v42, v25 offset:8704
	ds_read_u16 v28, v25
	ds_read_u16 v43, v25 offset:32
	ds_read_u16 v45, v25 offset:64
	;; [unrolled: 1-line block ×7, first 2 shown]
	v_cvt_f32_f16_sdwa v1, v1 dst_sel:DWORD dst_unused:UNUSED_PAD src0_sel:WORD_1
	s_waitcnt lgkmcnt(7)
	v_perm_b32 v26, v26, v28, s0
	v_accvgpr_write_b32 a0, v0
	v_accvgpr_write_b32 a2, v2
	;; [unrolled: 1-line block ×4, first 2 shown]
	v_cvt_f16_f32_e32 v44, v13
	v_cvt_f16_f32_e32 v25, v15
	v_mfma_f32_16x16x16f16 a[0:3], v[26:27], v[6:7], a[0:3]
	v_cvt_f16_f32_e32 v51, v16
	v_cvt_f16_f32_e32 v59, v17
	v_pk_mul_f16 v30, v18, v88 op_sel_hi:[0,1]
	s_movk_i32 s2, 0x2200
	ds_read_u16 v63, v24 offset:224
	s_add_i32 s3, 0, 0x60
	v_add_f32_e32 v9, v10, v9
	v_add_f32_e32 v9, v12, v9
	;; [unrolled: 1-line block ×5, first 2 shown]
	v_accvgpr_read_b32 v0, a0
	v_cvt_f16_f32_e32 v0, v0
	v_accvgpr_read_b32 v1, a1
	v_accvgpr_read_b32 v2, a2
	;; [unrolled: 1-line block ×3, first 2 shown]
	v_cvt_f16_f32_e32 v1, v1
	v_cvt_f16_f32_e32 v2, v2
	;; [unrolled: 1-line block ×3, first 2 shown]
	v_cvt_f32_f16_e32 v26, v0
	v_cvt_f32_f16_e32 v27, v1
	;; [unrolled: 1-line block ×4, first 2 shown]
	v_perm_b32 v3, v35, v36, s0
	v_perm_b32 v2, v34, v42, s0
	v_accvgpr_write_b32 a0, v26
	v_pk_mul_f16 v34, v18, v72 op_sel_hi:[0,1]
	v_pack_b32_f16 v0, v25, v44
	v_pack_b32_f16 v1, v59, v51
	v_accvgpr_write_b32 a1, v27
	v_accvgpr_write_b32 a2, v28
	;; [unrolled: 1-line block ×3, first 2 shown]
	v_cvt_f32_f16_e32 v26, v30
	v_cvt_f32_f16_sdwa v27, v30 dst_sel:DWORD dst_unused:UNUSED_PAD src0_sel:WORD_1
	v_mfma_f32_16x16x16f16 a[0:3], v[2:3], v[0:1], a[0:3]
	v_cvt_f32_f16_e32 v28, v34
	v_cvt_f32_f16_sdwa v29, v34 dst_sel:DWORD dst_unused:UNUSED_PAD src0_sel:WORD_1
	v_perm_b32 v3, v32, v37, s0
	s_waitcnt lgkmcnt(7)
	v_perm_b32 v2, v33, v43, s0
	v_accvgpr_write_b32 a4, v26
	v_accvgpr_write_b32 a5, v27
	;; [unrolled: 1-line block ×4, first 2 shown]
	v_mul_u32_u24_e32 v25, 0x220, v62
	v_add_f32_e32 v9, v17, v9
	v_mfma_f32_16x16x16f16 a[4:7], v[2:3], v[6:7], a[4:7]
	v_add_f32_e32 v9, v16, v9
	v_fmac_f32_e32 v9, v66, v14
	s_nop 7
	s_nop 0
	v_accvgpr_read_b32 v2, a4
	v_cvt_f16_f32_e32 v2, v2
	v_accvgpr_read_b32 v3, a5
	v_accvgpr_read_b32 v26, a6
	v_cvt_f16_f32_e32 v3, v3
	v_cvt_f16_f32_e32 v28, v26
	v_accvgpr_read_b32 v26, a7
	v_cvt_f16_f32_e32 v29, v26
	v_add3_u32 v26, 0, 32, v25
	v_add3_u32 v25, 0, 64, v25
	;; [unrolled: 1-line block ×4, first 2 shown]
	v_add_u32_e32 v30, v26, v19
	v_add_u32_e32 v32, v27, v20
	;; [unrolled: 1-line block ×4, first 2 shown]
	v_cvt_f32_f16_e32 v26, v2
	v_add_u32_e32 v2, 64, v23
	v_add_u32_e32 v35, v25, v19
	;; [unrolled: 1-line block ×3, first 2 shown]
	v_cvt_f32_f16_e32 v27, v3
	v_add_u32_e32 v3, v2, v20
	v_add_u32_e32 v2, v2, v22
	ds_read_u16 v30, v30 offset:8704
	ds_read_u16 v32, v32 offset:272
	;; [unrolled: 1-line block ×8, first 2 shown]
	v_cvt_f32_f16_e32 v28, v28
	v_cvt_f32_f16_e32 v29, v29
	s_waitcnt lgkmcnt(4)
	v_perm_b32 v3, v34, v33, s0
	v_perm_b32 v2, v32, v30, s0
	v_pk_mul_f16 v30, v18, v69 op_sel_hi:[0,1]
	v_accvgpr_write_b32 a4, v26
	v_pk_mul_f16 v32, v18, v75 op_sel_hi:[0,1]
	v_accvgpr_write_b32 a5, v27
	v_accvgpr_write_b32 a6, v28
	;; [unrolled: 1-line block ×3, first 2 shown]
	v_cvt_f32_f16_e32 v26, v30
	v_cvt_f32_f16_sdwa v27, v30 dst_sel:DWORD dst_unused:UNUSED_PAD src0_sel:WORD_1
	v_mfma_f32_16x16x16f16 a[4:7], v[2:3], v[0:1], a[4:7]
	v_cvt_f32_f16_e32 v28, v32
	v_cvt_f32_f16_sdwa v29, v32 dst_sel:DWORD dst_unused:UNUSED_PAD src0_sel:WORD_1
	s_waitcnt lgkmcnt(2)
	v_perm_b32 v3, v43, v38, s0
	v_perm_b32 v2, v42, v45, s0
	v_accvgpr_write_b32 a8, v26
	v_accvgpr_write_b32 a9, v27
	;; [unrolled: 1-line block ×4, first 2 shown]
	v_mov_b32_e32 v32, s3
	v_mad_u32_u24 v32, v62, s1, v32
	v_mfma_f32_16x16x16f16 a[8:11], v[2:3], v[6:7], a[8:11]
	v_add3_u32 v34, v32, v60, s2
	v_add_u32_e32 v25, v25, v21
	v_add_u32_e32 v30, v36, v22
	;; [unrolled: 1-line block ×6, first 2 shown]
	s_add_i32 s3, 0, 0x80
	s_nop 2
	v_accvgpr_read_b32 v2, a8
	v_cvt_f16_f32_e32 v2, v2
	v_accvgpr_read_b32 v3, a9
	v_accvgpr_read_b32 v26, a10
	v_cvt_f16_f32_e32 v3, v3
	v_cvt_f16_f32_e32 v28, v26
	v_accvgpr_read_b32 v26, a11
	v_cvt_f16_f32_e32 v29, v26
	v_cvt_f32_f16_e32 v26, v2
	v_add_u32_e32 v2, 0x60, v23
	v_cvt_f32_f16_e32 v27, v3
	v_add_u32_e32 v3, v2, v20
	v_add_u32_e32 v2, v2, v22
	v_cvt_f32_f16_e32 v28, v28
	v_cvt_f32_f16_e32 v29, v29
	ds_read_u16 v25, v25 offset:8704
	ds_read_u16 v30, v30 offset:272
	;; [unrolled: 1-line block ×8, first 2 shown]
	s_waitcnt lgkmcnt(6)
	v_perm_b32 v3, v30, v25, s0
	v_perm_b32 v2, v37, v35, s0
	v_pk_mul_f16 v25, v18, v68 op_sel_hi:[0,1]
	v_accvgpr_write_b32 a8, v26
	v_pk_mul_f16 v30, v18, v67 op_sel_hi:[0,1]
	v_accvgpr_write_b32 a9, v27
	v_accvgpr_write_b32 a10, v28
	;; [unrolled: 1-line block ×3, first 2 shown]
	v_cvt_f32_f16_e32 v26, v25
	v_cvt_f32_f16_sdwa v27, v25 dst_sel:DWORD dst_unused:UNUSED_PAD src0_sel:WORD_1
	v_mfma_f32_16x16x16f16 a[8:11], v[2:3], v[0:1], a[8:11]
	v_cvt_f32_f16_e32 v28, v30
	v_cvt_f32_f16_sdwa v29, v30 dst_sel:DWORD dst_unused:UNUSED_PAD src0_sel:WORD_1
	s_waitcnt lgkmcnt(4)
	v_perm_b32 v3, v42, v39, s0
	v_perm_b32 v2, v38, v46, s0
	v_accvgpr_write_b32 a12, v26
	v_accvgpr_write_b32 a13, v27
	;; [unrolled: 1-line block ×4, first 2 shown]
	v_pk_mul_f16 v30, v18, v76 op_sel_hi:[0,1]
	s_nop 0
	v_mfma_f32_16x16x16f16 a[12:15], v[2:3], v[6:7], a[12:15]
	s_nop 7
	s_nop 2
	v_accvgpr_read_b32 v2, a12
	v_cvt_f16_f32_e32 v2, v2
	v_accvgpr_read_b32 v3, a13
	v_accvgpr_read_b32 v25, a14
	;; [unrolled: 1-line block ×3, first 2 shown]
	v_cvt_f16_f32_e32 v3, v3
	v_cvt_f16_f32_e32 v25, v25
	v_cvt_f16_f32_e32 v29, v26
	v_cvt_f32_f16_e32 v26, v2
	v_cvt_f32_f16_e32 v27, v3
	;; [unrolled: 1-line block ×4, first 2 shown]
	s_waitcnt lgkmcnt(0)
	v_perm_b32 v3, v34, v32, s0
	v_perm_b32 v2, v36, v33, s0
	v_pk_mul_f16 v25, v18, v70 op_sel_hi:[0,1]
	v_accvgpr_write_b32 a12, v26
	v_accvgpr_write_b32 a13, v27
	v_accvgpr_write_b32 a14, v28
	v_accvgpr_write_b32 a15, v29
	v_cvt_f32_f16_e32 v26, v25
	v_cvt_f32_f16_sdwa v27, v25 dst_sel:DWORD dst_unused:UNUSED_PAD src0_sel:WORD_1
	v_mov_b32_e32 v25, s3
	v_mad_u32_u24 v25, v62, s1, v25
	v_mfma_f32_16x16x16f16 a[12:15], v[2:3], v[0:1], a[12:15]
	v_add_u32_e32 v2, 0x80, v23
	v_add3_u32 v32, v25, v60, s2
	v_add_u32_e32 v34, 0xa0, v23
	v_add_u32_e32 v3, v2, v20
	;; [unrolled: 1-line block ×3, first 2 shown]
	v_cvt_f32_f16_e32 v28, v30
	v_cvt_f32_f16_sdwa v29, v30 dst_sel:DWORD dst_unused:UNUSED_PAD src0_sel:WORD_1
	v_add_u32_e32 v30, v25, v19
	v_add_u32_e32 v33, v32, v20
	v_add_u32_e32 v25, v25, v21
	v_add_u32_e32 v32, v32, v22
	v_add_u32_e32 v35, v34, v20
	v_add_u32_e32 v34, v34, v22
	ds_read_u16 v36, v3 offset:272
	ds_read_u16 v2, v2 offset:272
	;; [unrolled: 1-line block ×8, first 2 shown]
	s_waitcnt lgkmcnt(6)
	v_perm_b32 v3, v2, v40, s0
	v_perm_b32 v2, v36, v47, s0
	v_accvgpr_write_b32 a16, v26
	v_accvgpr_write_b32 a17, v27
	;; [unrolled: 1-line block ×4, first 2 shown]
	s_add_i32 s3, 0, 0xa0
	s_nop 0
	v_mfma_f32_16x16x16f16 a[16:19], v[2:3], v[6:7], a[16:19]
	s_nop 7
	s_nop 2
	v_accvgpr_read_b32 v2, a16
	v_accvgpr_read_b32 v26, a18
	v_cvt_f16_f32_e32 v2, v2
	v_accvgpr_read_b32 v3, a17
	v_cvt_f16_f32_e32 v28, v26
	;; [unrolled: 2-line block ×3, first 2 shown]
	v_cvt_f16_f32_e32 v29, v26
	v_cvt_f32_f16_e32 v26, v2
	v_cvt_f32_f16_e32 v28, v28
	;; [unrolled: 1-line block ×4, first 2 shown]
	s_waitcnt lgkmcnt(2)
	v_perm_b32 v3, v32, v25, s0
	v_perm_b32 v2, v33, v30, s0
	v_pk_mul_f16 v25, v18, v74 op_sel_hi:[0,1]
	v_accvgpr_write_b32 a16, v26
	v_pk_mul_f16 v30, v18, v73 op_sel_hi:[0,1]
	v_accvgpr_write_b32 a17, v27
	v_accvgpr_write_b32 a18, v28
	;; [unrolled: 1-line block ×3, first 2 shown]
	v_cvt_f32_f16_e32 v26, v25
	v_cvt_f32_f16_sdwa v27, v25 dst_sel:DWORD dst_unused:UNUSED_PAD src0_sel:WORD_1
	v_mfma_f32_16x16x16f16 a[16:19], v[2:3], v[0:1], a[16:19]
	v_cvt_f32_f16_e32 v28, v30
	v_cvt_f32_f16_sdwa v29, v30 dst_sel:DWORD dst_unused:UNUSED_PAD src0_sel:WORD_1
	s_waitcnt lgkmcnt(0)
	v_perm_b32 v3, v34, v41, s0
	v_perm_b32 v2, v35, v48, s0
	v_accvgpr_write_b32 a20, v26
	v_accvgpr_write_b32 a21, v27
	;; [unrolled: 1-line block ×4, first 2 shown]
	s_nop 1
	v_mfma_f32_16x16x16f16 a[20:23], v[2:3], v[6:7], a[20:23]
	s_nop 7
	s_nop 2
	v_accvgpr_read_b32 v25, a22
	v_cvt_f16_f32_e32 v25, v25
	v_accvgpr_read_b32 v2, a20
	v_accvgpr_read_b32 v26, a23
	v_cvt_f16_f32_e32 v2, v2
	v_accvgpr_read_b32 v3, a21
	v_cvt_f16_f32_e32 v29, v26
	v_mov_b32_e32 v26, s3
	s_add_i32 s3, 0, 0xc0
	v_cvt_f16_f32_e32 v3, v3
	v_cvt_f32_f16_e32 v28, v25
	v_mov_b32_e32 v25, s3
	v_mad_u32_u24 v26, v62, s1, v26
	v_mad_u32_u24 v35, v62, s1, v25
	v_add3_u32 v27, v26, v60, s2
	v_add3_u32 v36, v35, v60, s2
	v_add_u32_e32 v30, v26, v19
	v_add_u32_e32 v32, v27, v20
	;; [unrolled: 1-line block ×4, first 2 shown]
	v_cvt_f32_f16_e32 v26, v2
	v_add_u32_e32 v2, 0xc0, v23
	v_add_u32_e32 v37, v36, v20
	v_cvt_f32_f16_e32 v27, v3
	v_add_u32_e32 v3, v2, v20
	v_add_u32_e32 v2, v2, v22
	;; [unrolled: 1-line block ×3, first 2 shown]
	ds_read_u16 v30, v30 offset:8704
	ds_read_u16 v32, v32 offset:272
	;; [unrolled: 1-line block ×8, first 2 shown]
	v_cvt_f32_f16_e32 v29, v29
	s_waitcnt lgkmcnt(4)
	v_perm_b32 v3, v34, v33, s0
	v_perm_b32 v2, v32, v30, s0
	ds_read_u16 v30, v24 offset:192
	v_pk_mul_f16 v25, v18, v71 op_sel_hi:[0,1]
	v_accvgpr_write_b32 a20, v26
	v_pk_mul_f16 v32, v18, v53 op_sel_hi:[0,1]
	v_accvgpr_write_b32 a21, v27
	v_accvgpr_write_b32 a22, v28
	;; [unrolled: 1-line block ×3, first 2 shown]
	v_cvt_f32_f16_e32 v24, v25
	v_cvt_f32_f16_sdwa v25, v25 dst_sel:DWORD dst_unused:UNUSED_PAD src0_sel:WORD_1
	v_mfma_f32_16x16x16f16 a[20:23], v[2:3], v[0:1], a[20:23]
	v_cvt_f32_f16_e32 v26, v32
	v_cvt_f32_f16_sdwa v27, v32 dst_sel:DWORD dst_unused:UNUSED_PAD src0_sel:WORD_1
	s_waitcnt lgkmcnt(0)
	v_perm_b32 v3, v39, v30, s0
	v_perm_b32 v2, v38, v49, s0
	v_accvgpr_write_b32 a24, v24
	v_accvgpr_write_b32 a25, v25
	v_accvgpr_write_b32 a26, v26
	v_accvgpr_write_b32 a27, v27
	s_add_i32 s3, 0, 0xe0
	v_add_u32_e32 v12, v35, v21
	v_mfma_f32_16x16x16f16 a[24:27], v[2:3], v[6:7], a[24:27]
	v_add_u32_e32 v28, v36, v22
	s_nop 7
	s_nop 1
	v_accvgpr_read_b32 v10, a26
	v_accvgpr_read_b32 v2, a24
	v_cvt_f16_f32_e32 v10, v10
	v_cvt_f16_f32_e32 v2, v2
	v_accvgpr_read_b32 v3, a25
	v_accvgpr_read_b32 v11, a27
	v_cvt_f16_f32_e32 v3, v3
	v_cvt_f16_f32_e32 v11, v11
	v_cvt_f32_f16_e32 v26, v10
	v_mov_b32_e32 v10, s3
	v_cvt_f32_f16_e32 v24, v2
	v_add_u32_e32 v2, 0xe0, v23
	v_mad_u32_u24 v10, v62, s1, v10
	v_cvt_f32_f16_e32 v25, v3
	v_cvt_f32_f16_e32 v27, v11
	v_add_u32_e32 v3, v2, v20
	v_add_u32_e32 v2, v2, v22
	;; [unrolled: 1-line block ×3, first 2 shown]
	v_add3_u32 v19, v10, v60, s2
	v_add_u32_e32 v20, v19, v20
	v_add_u32_e32 v10, v10, v21
	;; [unrolled: 1-line block ×3, first 2 shown]
	ds_read_u16 v12, v12 offset:8704
	ds_read_u16 v21, v28 offset:272
	;; [unrolled: 1-line block ×8, first 2 shown]
	s_waitcnt lgkmcnt(6)
	v_perm_b32 v3, v21, v12, s0
	v_perm_b32 v2, v37, v40, s0
	v_pk_mul_f16 v11, v18, v64 op_sel_hi:[0,1]
	v_accvgpr_write_b32 a24, v24
	v_pk_mul_f16 v10, v18, v52 op_sel_hi:[0,1]
	v_accvgpr_write_b32 a25, v25
	v_accvgpr_write_b32 a26, v26
	;; [unrolled: 1-line block ×3, first 2 shown]
	v_cvt_f32_f16_sdwa v21, v11 dst_sel:DWORD dst_unused:UNUSED_PAD src0_sel:WORD_1
	v_cvt_f32_f16_e32 v18, v10
	v_mfma_f32_16x16x16f16 a[24:27], v[2:3], v[0:1], a[24:27]
	v_cvt_f32_f16_sdwa v19, v10 dst_sel:DWORD dst_unused:UNUSED_PAD src0_sel:WORD_1
	v_cvt_f32_f16_e32 v20, v11
	s_waitcnt lgkmcnt(4)
	v_perm_b32 v3, v23, v63, s0
	v_perm_b32 v2, v22, v50, s0
	v_accvgpr_write_b32 a31, v21
	v_accvgpr_write_b32 a30, v20
	;; [unrolled: 1-line block ×4, first 2 shown]
	s_waitcnt lgkmcnt(0)
	s_barrier
	v_mfma_f32_16x16x16f16 a[28:31], v[2:3], v[6:7], a[28:31]
	s_nop 7
	s_nop 2
	v_accvgpr_read_b32 v7, a31
	v_accvgpr_read_b32 v2, a28
	;; [unrolled: 1-line block ×4, first 2 shown]
	v_cvt_f16_f32_e32 v7, v7
	v_cvt_f16_f32_e32 v2, v2
	;; [unrolled: 1-line block ×4, first 2 shown]
	v_cvt_f32_f16_e32 v13, v7
	v_cvt_f32_f16_e32 v10, v2
	;; [unrolled: 1-line block ×4, first 2 shown]
	v_perm_b32 v3, v32, v30, s0
	v_perm_b32 v2, v29, v28, s0
	ds_bpermute_b32 v6, v8, v9
	v_accvgpr_write_b32 a31, v13
	v_accvgpr_write_b32 a30, v12
	;; [unrolled: 1-line block ×4, first 2 shown]
	v_cmp_gt_u32_e64 s[0:1], 16, v54
	s_nop 0
	v_mfma_f32_16x16x16f16 a[28:31], v[2:3], v[0:1], a[28:31]
	s_waitcnt lgkmcnt(0)
	v_add_f32_e32 v0, v9, v6
	ds_bpermute_b32 v1, v5, v0
	s_and_saveexec_b64 s[2:3], s[0:1]
	s_cbranch_execz .LBB0_371
; %bb.370:
	s_waitcnt lgkmcnt(0)
	v_add_f32_e32 v0, v0, v1
	v_or_b32_e32 v1, v202, v54
	v_mad_u32_u24 v1, v1, s4, 0
	ds_write2_b32 v1, v4, v0 offset0:64 offset1:65
.LBB0_371:
	s_or_b64 exec, exec, s[2:3]
	v_cmp_eq_u32_e32 vcc, 0, v200
	v_cmp_eq_u32_e64 s[2:3], 1, v200
	s_waitcnt lgkmcnt(0)
	s_barrier
	s_and_saveexec_b64 s[4:5], s[2:3]
	s_xor_b64 s[2:3], exec, s[4:5]
	s_cbranch_execz .LBB0_373
; %bb.372:
	s_barrier
	s_waitcnt lgkmcnt(0)
                                        ; implicit-def: $vgpr61
                                        ; implicit-def: $vgpr31
                                        ; implicit-def: $vgpr5
.LBB0_373:
	s_andn2_saveexec_b64 s[4:5], s[2:3]
	s_cbranch_execz .LBB0_379
; %bb.374:
	v_or_b32_e32 v1, v202, v31
	s_movk_i32 s2, 0x110
	v_mad_u32_u24 v0, v1, s2, 0
	ds_read_b64 v[6:7], v0 offset:256
	s_mov_b32 s2, 0x3fb8aa3b
	s_mov_b32 s6, 0x42b17218
	s_waitcnt lgkmcnt(0)
	s_barrier
	ds_bpermute_b32 v0, v5, v6
	v_max_f32_e32 v2, v6, v6
	s_waitcnt lgkmcnt(0)
	v_max_f32_e32 v0, v0, v0
	v_max_f32_e32 v0, v2, v0
	v_sub_f32_e32 v2, v6, v0
	v_mul_f32_e32 v3, 0x3fb8aa3b, v2
	v_fma_f32 v4, v2, s2, -v3
	v_rndne_f32_e32 v6, v3
	v_fmac_f32_e32 v4, 0x32a5705f, v2
	v_sub_f32_e32 v3, v3, v6
	v_add_f32_e32 v3, v3, v4
	v_cvt_i32_f32_e32 v6, v6
	v_exp_f32_e32 v3, v3
	s_mov_b32 s2, 0xc2ce8ed0
	v_cmp_ngt_f32_e64 s[2:3], s2, v2
	v_mov_b32_e32 v4, 0x7f800000
	v_ldexp_f32 v3, v3, v6
	v_cndmask_b32_e64 v3, 0, v3, s[2:3]
	v_cmp_nlt_f32_e64 s[2:3], s6, v2
	v_cndmask_b32_e64 v2, v4, v3, s[2:3]
	v_mul_f32_e32 v3, v7, v2
	ds_bpermute_b32 v3, v5, v3
	v_cmp_gt_u32_e64 s[2:3], 32, v54
	s_waitcnt lgkmcnt(0)
	v_fmac_f32_e32 v3, v7, v2
	s_and_saveexec_b64 s[8:9], s[2:3]
	s_cbranch_execz .LBB0_376
; %bb.375:
	v_mul_u32_u24_e32 v1, 0x110, v1
	v_add_u32_e32 v1, 0, v1
	ds_write_b64 v1, v[2:3] offset:256
.LBB0_376:
	s_or_b64 exec, exec, s[8:9]
	s_and_saveexec_b64 s[2:3], s[0:1]
	s_cbranch_execz .LBB0_378
; %bb.377:
	s_add_i32 s0, s35, s44
	s_lshl_b32 s0, s0, 5
	s_mov_b32 s1, 0
	s_lshl_b64 s[0:1], s[0:1], 3
	s_add_u32 s0, s30, s0
	v_or_b32_e32 v1, v61, v54
	s_addc_u32 s1, s31, s1
	v_lshlrev_b32_e32 v2, 3, v1
	v_mov_b32_e32 v1, v3
	global_store_dwordx2 v2, v[0:1], s[0:1]
.LBB0_378:
	s_or_b64 exec, exec, s[2:3]
.LBB0_379:
	s_or_b64 exec, exec, s[4:5]
	v_accvgpr_read_b32 v0, a28
	v_accvgpr_read_b32 v1, a29
	;; [unrolled: 1-line block ×3, first 2 shown]
	v_cvt_f16_f32_e32 v0, v0
	v_cvt_f16_f32_e32 v1, v1
	v_accvgpr_read_b32 v30, a2
	v_accvgpr_read_b32 v29, a1
	;; [unrolled: 1-line block ×29, first 2 shown]
	v_cvt_f16_f32_e32 v28, v28
	v_cvt_f16_f32_e32 v29, v29
	;; [unrolled: 1-line block ×30, first 2 shown]
	v_pack_b32_f16 v0, v0, v1
	v_or_b32_e32 v1, v202, v56
	s_movk_i32 s0, 0x44
	v_mad_u32_u24 v1, v1, s0, v58
	v_pack_b32_f16 v30, v30, v31
	v_pack_b32_f16 v28, v28, v29
	s_mov_b32 s3, 0
	v_lshl_add_u32 v1, v1, 2, 0
	v_pack_b32_f16 v26, v26, v27
	v_pack_b32_f16 v24, v24, v25
	;; [unrolled: 1-line block ×13, first 2 shown]
	ds_write2_b32 v1, v28, v30 offset1:1
	ds_write2_b32 v1, v24, v26 offset0:8 offset1:9
	ds_write2_b32 v1, v20, v22 offset0:16 offset1:17
	;; [unrolled: 1-line block ×7, first 2 shown]
	s_waitcnt lgkmcnt(0)
	s_barrier
	s_and_saveexec_b64 s[0:1], vcc
	s_cbranch_execz .LBB0_381
; %bb.380:
	s_lshl_b32 s2, s35, 6
	s_lshl_b64 s[4:5], s[2:3], 3
	s_add_u32 s6, s30, s4
	v_bfe_u32 v8, v57, 1, 4
	s_movk_i32 s4, 0x3e0
	v_and_or_b32 v0, v57, s4, v8
	s_movk_i32 s4, 0x110
	v_mad_u32_u24 v2, v0, s4, 0
	v_lshlrev_b32_e32 v9, 2, v54
	v_add_u32_e32 v0, v2, v9
	ds_read2st64_b32 v[0:1], v0 offset1:17
	ds_read2st64_b32 v[2:3], v2 offset0:1 offset1:18
	s_addc_u32 s5, s31, s5
	s_lshl_b32 s2, s44, 11
	s_lshl_b64 s[2:3], s[2:3], 3
	s_waitcnt lgkmcnt(1)
	v_cvt_f32_f16_e32 v4, v0
	v_cvt_f32_f16_sdwa v5, v0 dst_sel:DWORD dst_unused:UNUSED_PAD src0_sel:WORD_1
	v_cvt_f32_f16_e32 v0, v1
	v_cvt_f32_f16_sdwa v1, v1 dst_sel:DWORD dst_unused:UNUSED_PAD src0_sel:WORD_1
	s_add_u32 s2, s6, s2
	s_waitcnt lgkmcnt(0)
	v_pk_fma_f32 v[4:5], v[2:3], v[4:5], 0 op_sel_hi:[0,1,0]
	v_mov_b32_e32 v2, v3
	v_pk_fma_f32 v[0:1], v[2:3], v[0:1], v[4:5] op_sel_hi:[0,1,1]
	v_add_u32_e32 v4, 2, v55
	s_addc_u32 s3, s5, s3
	v_lshlrev_b32_e32 v2, 1, v4
	v_and_b32_e32 v3, 15, v4
	s_movk_i32 s5, 0x7e0
	v_and_or_b32 v2, v2, s5, v3
	v_mad_u32_u24 v5, v2, s4, 0
	v_add_u32_e32 v2, v5, v9
	v_lshlrev_b32_e32 v6, 6, v55
	ds_read2st64_b32 v[2:3], v2 offset1:17
	v_add_lshl_u32 v6, v6, v54, 3
	v_add_u32_e32 v11, 4, v55
	global_store_dwordx2 v6, v[0:1], s[2:3]
	v_lshlrev_b32_e32 v6, 1, v11
	v_and_b32_e32 v7, 15, v11
	v_and_or_b32 v6, v6, s5, v7
	v_lshlrev_b32_e32 v4, 6, v4
	ds_read2st64_b32 v[0:1], v5 offset0:1 offset1:18
	v_mad_u32_u24 v12, v6, s4, 0
	v_add_lshl_u32 v10, v4, v54, 3
	s_waitcnt lgkmcnt(1)
	v_cvt_f32_f16_e32 v4, v2
	v_cvt_f32_f16_sdwa v5, v2 dst_sel:DWORD dst_unused:UNUSED_PAD src0_sel:WORD_1
	v_add_u32_e32 v6, v12, v9
	v_cvt_f32_f16_e32 v2, v3
	v_cvt_f32_f16_sdwa v3, v3 dst_sel:DWORD dst_unused:UNUSED_PAD src0_sel:WORD_1
	ds_read2st64_b32 v[6:7], v6 offset1:17
	s_waitcnt lgkmcnt(1)
	v_pk_fma_f32 v[4:5], v[0:1], v[4:5], 0 op_sel_hi:[0,1,0]
	v_mov_b32_e32 v0, v1
	v_pk_fma_f32 v[0:1], v[0:1], v[2:3], v[4:5] op_sel_hi:[0,1,1]
	ds_read2st64_b32 v[2:3], v12 offset0:1 offset1:18
	s_waitcnt lgkmcnt(1)
	v_cvt_f32_f16_e32 v4, v6
	v_cvt_f32_f16_sdwa v5, v6 dst_sel:DWORD dst_unused:UNUSED_PAD src0_sel:WORD_1
	global_store_dwordx2 v10, v[0:1], s[2:3]
	v_lshlrev_b32_e32 v0, 6, v11
	v_add_lshl_u32 v10, v0, v54, 3
	s_waitcnt lgkmcnt(0)
	v_pk_fma_f32 v[0:1], v[2:3], v[4:5], 0 op_sel_hi:[0,1,0]
	v_mov_b32_e32 v2, v3
	v_add_u32_e32 v3, 6, v55
	v_cvt_f32_f16_e32 v4, v7
	v_cvt_f32_f16_sdwa v5, v7 dst_sel:DWORD dst_unused:UNUSED_PAD src0_sel:WORD_1
	v_lshlrev_b32_e32 v6, 1, v3
	v_and_b32_e32 v7, 15, v3
	v_and_or_b32 v6, v6, s5, v7
	v_mad_u32_u24 v11, v6, s4, 0
	v_add_u32_e32 v6, v11, v9
	ds_read2st64_b32 v[6:7], v6 offset1:17
	v_pk_fma_f32 v[0:1], v[2:3], v[4:5], v[0:1] op_sel_hi:[0,1,1]
	global_store_dwordx2 v10, v[0:1], s[2:3]
	ds_read2st64_b32 v[0:1], v11 offset0:1 offset1:18
	v_lshlrev_b32_e32 v10, 6, v3
	s_waitcnt lgkmcnt(1)
	v_cvt_f32_f16_e32 v2, v6
	v_cvt_f32_f16_sdwa v3, v6 dst_sel:DWORD dst_unused:UNUSED_PAD src0_sel:WORD_1
	v_cvt_f32_f16_e32 v4, v7
	v_cvt_f32_f16_sdwa v5, v7 dst_sel:DWORD dst_unused:UNUSED_PAD src0_sel:WORD_1
	v_add_lshl_u32 v6, v10, v54, 3
	s_waitcnt lgkmcnt(0)
	v_pk_fma_f32 v[2:3], v[0:1], v[2:3], 0 op_sel_hi:[0,1,0]
	v_mov_b32_e32 v0, v1
	v_pk_fma_f32 v[0:1], v[0:1], v[4:5], v[2:3] op_sel_hi:[0,1,1]
	v_add_u32_e32 v4, 8, v55
	v_lshlrev_b32_e32 v2, 1, v4
	v_and_b32_e32 v3, 15, v4
	v_and_or_b32 v2, v2, s5, v3
	v_mad_u32_u24 v5, v2, s4, 0
	v_add_u32_e32 v2, v5, v9
	ds_read2st64_b32 v[2:3], v2 offset1:17
	v_add_u32_e32 v11, 10, v55
	global_store_dwordx2 v6, v[0:1], s[2:3]
	v_lshlrev_b32_e32 v6, 1, v11
	v_and_b32_e32 v7, 15, v11
	v_and_or_b32 v6, v6, s5, v7
	v_lshlrev_b32_e32 v4, 6, v4
	ds_read2st64_b32 v[0:1], v5 offset0:1 offset1:18
	v_mad_u32_u24 v12, v6, s4, 0
	v_add_lshl_u32 v10, v4, v54, 3
	s_waitcnt lgkmcnt(1)
	v_cvt_f32_f16_e32 v4, v2
	v_cvt_f32_f16_sdwa v5, v2 dst_sel:DWORD dst_unused:UNUSED_PAD src0_sel:WORD_1
	v_add_u32_e32 v6, v12, v9
	v_cvt_f32_f16_e32 v2, v3
	v_cvt_f32_f16_sdwa v3, v3 dst_sel:DWORD dst_unused:UNUSED_PAD src0_sel:WORD_1
	ds_read2st64_b32 v[6:7], v6 offset1:17
	s_waitcnt lgkmcnt(1)
	v_pk_fma_f32 v[4:5], v[0:1], v[4:5], 0 op_sel_hi:[0,1,0]
	v_mov_b32_e32 v0, v1
	v_pk_fma_f32 v[0:1], v[0:1], v[2:3], v[4:5] op_sel_hi:[0,1,1]
	ds_read2st64_b32 v[2:3], v12 offset0:1 offset1:18
	s_waitcnt lgkmcnt(1)
	v_cvt_f32_f16_e32 v4, v6
	v_cvt_f32_f16_sdwa v5, v6 dst_sel:DWORD dst_unused:UNUSED_PAD src0_sel:WORD_1
	global_store_dwordx2 v10, v[0:1], s[2:3]
	v_lshlrev_b32_e32 v0, 6, v11
	v_add_lshl_u32 v10, v0, v54, 3
	s_waitcnt lgkmcnt(0)
	v_pk_fma_f32 v[0:1], v[2:3], v[4:5], 0 op_sel_hi:[0,1,0]
	v_mov_b32_e32 v2, v3
	v_add_u32_e32 v3, 12, v55
	v_cvt_f32_f16_e32 v4, v7
	v_cvt_f32_f16_sdwa v5, v7 dst_sel:DWORD dst_unused:UNUSED_PAD src0_sel:WORD_1
	v_lshlrev_b32_e32 v6, 1, v3
	v_and_b32_e32 v7, 15, v3
	v_and_or_b32 v6, v6, s5, v7
	v_mad_u32_u24 v11, v6, s4, 0
	v_add_u32_e32 v6, v11, v9
	ds_read2st64_b32 v[6:7], v6 offset1:17
	v_pk_fma_f32 v[0:1], v[2:3], v[4:5], v[0:1] op_sel_hi:[0,1,1]
	global_store_dwordx2 v10, v[0:1], s[2:3]
	ds_read2st64_b32 v[0:1], v11 offset0:1 offset1:18
	v_lshlrev_b32_e32 v10, 6, v3
	s_waitcnt lgkmcnt(1)
	v_cvt_f32_f16_e32 v2, v6
	v_cvt_f32_f16_sdwa v3, v6 dst_sel:DWORD dst_unused:UNUSED_PAD src0_sel:WORD_1
	v_cvt_f32_f16_e32 v4, v7
	v_cvt_f32_f16_sdwa v5, v7 dst_sel:DWORD dst_unused:UNUSED_PAD src0_sel:WORD_1
	v_add_lshl_u32 v6, v10, v54, 3
	s_waitcnt lgkmcnt(0)
	v_pk_fma_f32 v[2:3], v[0:1], v[2:3], 0 op_sel_hi:[0,1,0]
	v_mov_b32_e32 v0, v1
	v_pk_fma_f32 v[0:1], v[0:1], v[4:5], v[2:3] op_sel_hi:[0,1,1]
	v_add_u32_e32 v4, 14, v55
	v_lshlrev_b32_e32 v2, 1, v4
	v_and_b32_e32 v3, 15, v4
	v_and_or_b32 v2, v2, s5, v3
	v_mad_u32_u24 v5, v2, s4, 0
	v_add_u32_e32 v2, v5, v9
	ds_read2st64_b32 v[2:3], v2 offset1:17
	v_add_u32_e32 v11, 16, v55
	global_store_dwordx2 v6, v[0:1], s[2:3]
	v_lshlrev_b32_e32 v6, 1, v11
	v_and_or_b32 v6, v6, s5, v8
	v_lshlrev_b32_e32 v4, 6, v4
	ds_read2st64_b32 v[0:1], v5 offset0:1 offset1:18
	v_mad_u32_u24 v8, v6, s4, 0
	v_add_lshl_u32 v10, v4, v54, 3
	s_waitcnt lgkmcnt(1)
	v_cvt_f32_f16_e32 v4, v2
	v_cvt_f32_f16_sdwa v5, v2 dst_sel:DWORD dst_unused:UNUSED_PAD src0_sel:WORD_1
	v_add_u32_e32 v6, v8, v9
	v_cvt_f32_f16_e32 v2, v3
	v_cvt_f32_f16_sdwa v3, v3 dst_sel:DWORD dst_unused:UNUSED_PAD src0_sel:WORD_1
	ds_read2st64_b32 v[6:7], v6 offset1:17
	s_waitcnt lgkmcnt(1)
	v_pk_fma_f32 v[4:5], v[0:1], v[4:5], 0 op_sel_hi:[0,1,0]
	v_mov_b32_e32 v0, v1
	v_pk_fma_f32 v[0:1], v[0:1], v[2:3], v[4:5] op_sel_hi:[0,1,1]
	ds_read2st64_b32 v[2:3], v8 offset0:1 offset1:18
	s_waitcnt lgkmcnt(1)
	v_cvt_f32_f16_e32 v4, v6
	v_cvt_f32_f16_sdwa v5, v6 dst_sel:DWORD dst_unused:UNUSED_PAD src0_sel:WORD_1
	global_store_dwordx2 v10, v[0:1], s[2:3]
	v_lshlrev_b32_e32 v0, 6, v11
	v_add_lshl_u32 v8, v0, v54, 3
	s_waitcnt lgkmcnt(0)
	v_pk_fma_f32 v[0:1], v[2:3], v[4:5], 0 op_sel_hi:[0,1,0]
	v_mov_b32_e32 v2, v3
	v_add_u32_e32 v3, 18, v55
	v_cvt_f32_f16_e32 v4, v7
	v_cvt_f32_f16_sdwa v5, v7 dst_sel:DWORD dst_unused:UNUSED_PAD src0_sel:WORD_1
	v_lshlrev_b32_e32 v6, 1, v3
	v_and_b32_e32 v7, 15, v3
	v_and_or_b32 v6, v6, s5, v7
	v_mad_u32_u24 v10, v6, s4, 0
	v_add_u32_e32 v6, v10, v9
	ds_read2st64_b32 v[6:7], v6 offset1:17
	v_pk_fma_f32 v[0:1], v[2:3], v[4:5], v[0:1] op_sel_hi:[0,1,1]
	global_store_dwordx2 v8, v[0:1], s[2:3]
	ds_read2st64_b32 v[0:1], v10 offset0:1 offset1:18
	v_lshlrev_b32_e32 v8, 6, v3
	s_waitcnt lgkmcnt(1)
	v_cvt_f32_f16_e32 v2, v6
	v_cvt_f32_f16_sdwa v3, v6 dst_sel:DWORD dst_unused:UNUSED_PAD src0_sel:WORD_1
	v_cvt_f32_f16_e32 v4, v7
	v_cvt_f32_f16_sdwa v5, v7 dst_sel:DWORD dst_unused:UNUSED_PAD src0_sel:WORD_1
	v_add_lshl_u32 v6, v8, v54, 3
	s_waitcnt lgkmcnt(0)
	v_pk_fma_f32 v[2:3], v[0:1], v[2:3], 0 op_sel_hi:[0,1,0]
	v_mov_b32_e32 v0, v1
	v_pk_fma_f32 v[0:1], v[0:1], v[4:5], v[2:3] op_sel_hi:[0,1,1]
	v_add_u32_e32 v4, 20, v55
	v_lshlrev_b32_e32 v2, 1, v4
	v_and_b32_e32 v3, 15, v4
	v_and_or_b32 v2, v2, s5, v3
	v_mad_u32_u24 v5, v2, s4, 0
	v_add_u32_e32 v2, v5, v9
	ds_read2st64_b32 v[2:3], v2 offset1:17
	v_add_u32_e32 v10, 22, v55
	global_store_dwordx2 v6, v[0:1], s[2:3]
	v_lshlrev_b32_e32 v6, 1, v10
	v_and_b32_e32 v7, 15, v10
	v_and_or_b32 v6, v6, s5, v7
	v_lshlrev_b32_e32 v4, 6, v4
	ds_read2st64_b32 v[0:1], v5 offset0:1 offset1:18
	v_mad_u32_u24 v11, v6, s4, 0
	v_add_lshl_u32 v8, v4, v54, 3
	s_waitcnt lgkmcnt(1)
	v_cvt_f32_f16_e32 v4, v2
	v_cvt_f32_f16_sdwa v5, v2 dst_sel:DWORD dst_unused:UNUSED_PAD src0_sel:WORD_1
	v_add_u32_e32 v6, v11, v9
	v_cvt_f32_f16_e32 v2, v3
	v_cvt_f32_f16_sdwa v3, v3 dst_sel:DWORD dst_unused:UNUSED_PAD src0_sel:WORD_1
	ds_read2st64_b32 v[6:7], v6 offset1:17
	s_waitcnt lgkmcnt(1)
	v_pk_fma_f32 v[4:5], v[0:1], v[4:5], 0 op_sel_hi:[0,1,0]
	v_mov_b32_e32 v0, v1
	v_pk_fma_f32 v[0:1], v[0:1], v[2:3], v[4:5] op_sel_hi:[0,1,1]
	ds_read2st64_b32 v[2:3], v11 offset0:1 offset1:18
	s_waitcnt lgkmcnt(1)
	v_cvt_f32_f16_e32 v4, v6
	v_cvt_f32_f16_sdwa v5, v6 dst_sel:DWORD dst_unused:UNUSED_PAD src0_sel:WORD_1
	global_store_dwordx2 v8, v[0:1], s[2:3]
	v_lshlrev_b32_e32 v0, 6, v10
	v_add_lshl_u32 v8, v0, v54, 3
	s_waitcnt lgkmcnt(0)
	v_pk_fma_f32 v[0:1], v[2:3], v[4:5], 0 op_sel_hi:[0,1,0]
	v_mov_b32_e32 v2, v3
	v_add_u32_e32 v3, 24, v55
	v_cvt_f32_f16_e32 v4, v7
	v_cvt_f32_f16_sdwa v5, v7 dst_sel:DWORD dst_unused:UNUSED_PAD src0_sel:WORD_1
	v_lshlrev_b32_e32 v6, 1, v3
	v_and_b32_e32 v7, 15, v3
	v_and_or_b32 v6, v6, s5, v7
	v_mad_u32_u24 v10, v6, s4, 0
	v_add_u32_e32 v6, v10, v9
	ds_read2st64_b32 v[6:7], v6 offset1:17
	v_pk_fma_f32 v[0:1], v[2:3], v[4:5], v[0:1] op_sel_hi:[0,1,1]
	global_store_dwordx2 v8, v[0:1], s[2:3]
	ds_read2st64_b32 v[0:1], v10 offset0:1 offset1:18
	v_lshlrev_b32_e32 v8, 6, v3
	s_waitcnt lgkmcnt(1)
	v_cvt_f32_f16_e32 v2, v6
	v_cvt_f32_f16_sdwa v3, v6 dst_sel:DWORD dst_unused:UNUSED_PAD src0_sel:WORD_1
	v_cvt_f32_f16_e32 v4, v7
	v_cvt_f32_f16_sdwa v5, v7 dst_sel:DWORD dst_unused:UNUSED_PAD src0_sel:WORD_1
	v_add_lshl_u32 v6, v8, v54, 3
	s_waitcnt lgkmcnt(0)
	v_pk_fma_f32 v[2:3], v[0:1], v[2:3], 0 op_sel_hi:[0,1,0]
	v_mov_b32_e32 v0, v1
	v_pk_fma_f32 v[0:1], v[0:1], v[4:5], v[2:3] op_sel_hi:[0,1,1]
	v_add_u32_e32 v4, 26, v55
	v_lshlrev_b32_e32 v2, 1, v4
	v_and_b32_e32 v3, 15, v4
	v_and_or_b32 v2, v2, s5, v3
	v_mad_u32_u24 v5, v2, s4, 0
	v_add_u32_e32 v2, v5, v9
	ds_read2st64_b32 v[2:3], v2 offset1:17
	v_add_u32_e32 v10, 28, v55
	global_store_dwordx2 v6, v[0:1], s[2:3]
	v_lshlrev_b32_e32 v6, 1, v10
	v_and_b32_e32 v7, 15, v10
	v_and_or_b32 v6, v6, s5, v7
	v_lshlrev_b32_e32 v4, 6, v4
	ds_read2st64_b32 v[0:1], v5 offset0:1 offset1:18
	v_mad_u32_u24 v11, v6, s4, 0
	v_add_lshl_u32 v8, v4, v54, 3
	s_waitcnt lgkmcnt(1)
	v_cvt_f32_f16_e32 v4, v2
	v_cvt_f32_f16_sdwa v5, v2 dst_sel:DWORD dst_unused:UNUSED_PAD src0_sel:WORD_1
	v_add_u32_e32 v6, v11, v9
	v_cvt_f32_f16_e32 v2, v3
	v_cvt_f32_f16_sdwa v3, v3 dst_sel:DWORD dst_unused:UNUSED_PAD src0_sel:WORD_1
	ds_read2st64_b32 v[6:7], v6 offset1:17
	s_waitcnt lgkmcnt(1)
	v_pk_fma_f32 v[4:5], v[0:1], v[4:5], 0 op_sel_hi:[0,1,0]
	v_mov_b32_e32 v0, v1
	v_pk_fma_f32 v[0:1], v[0:1], v[2:3], v[4:5] op_sel_hi:[0,1,1]
	ds_read2st64_b32 v[2:3], v11 offset0:1 offset1:18
	s_waitcnt lgkmcnt(1)
	v_cvt_f32_f16_e32 v4, v6
	v_cvt_f32_f16_sdwa v5, v6 dst_sel:DWORD dst_unused:UNUSED_PAD src0_sel:WORD_1
	global_store_dwordx2 v8, v[0:1], s[2:3]
	v_lshlrev_b32_e32 v0, 6, v10
	v_add_lshl_u32 v8, v0, v54, 3
	s_waitcnt lgkmcnt(0)
	v_pk_fma_f32 v[0:1], v[2:3], v[4:5], 0 op_sel_hi:[0,1,0]
	v_mov_b32_e32 v2, v3
	v_add_u32_e32 v3, 30, v55
	v_cvt_f32_f16_e32 v4, v7
	v_cvt_f32_f16_sdwa v5, v7 dst_sel:DWORD dst_unused:UNUSED_PAD src0_sel:WORD_1
	v_lshlrev_b32_e32 v6, 1, v3
	v_and_b32_e32 v7, 15, v3
	v_and_or_b32 v6, v6, s5, v7
	v_mad_u32_u24 v10, v6, s4, 0
	v_add_u32_e32 v6, v10, v9
	ds_read2st64_b32 v[6:7], v6 offset1:17
	v_pk_fma_f32 v[0:1], v[2:3], v[4:5], v[0:1] op_sel_hi:[0,1,1]
	global_store_dwordx2 v8, v[0:1], s[2:3]
	ds_read2st64_b32 v[0:1], v10 offset0:1 offset1:18
	v_lshlrev_b32_e32 v8, 6, v3
	s_waitcnt lgkmcnt(1)
	v_cvt_f32_f16_e32 v2, v6
	v_cvt_f32_f16_sdwa v3, v6 dst_sel:DWORD dst_unused:UNUSED_PAD src0_sel:WORD_1
	v_cvt_f32_f16_e32 v4, v7
	v_cvt_f32_f16_sdwa v5, v7 dst_sel:DWORD dst_unused:UNUSED_PAD src0_sel:WORD_1
	v_add_lshl_u32 v6, v8, v54, 3
	s_waitcnt lgkmcnt(0)
	v_pk_fma_f32 v[2:3], v[0:1], v[2:3], 0 op_sel_hi:[0,1,0]
	v_mov_b32_e32 v0, v1
	v_pk_fma_f32 v[0:1], v[0:1], v[4:5], v[2:3] op_sel_hi:[0,1,1]
	global_store_dwordx2 v6, v[0:1], s[2:3]
.LBB0_381:
	s_or_b64 exec, exec, s[0:1]
	s_barrier
	s_endpgm
	.section	.rodata,"a",@progbits
	.p2align	6, 0x0
	.amdhsa_kernel _ZL18flash_attn_ext_f16ILi192ELi128ELi2ELi16ELb0ELb0EEvPKcS1_S1_S1_S1_PKiPfP15HIP_vector_typeIfLj2EEffffjfiS5_IjLj3EEiiiiiiiiiiiliiliiiiil
		.amdhsa_group_segment_fixed_size 0
		.amdhsa_private_segment_fixed_size 0
		.amdhsa_kernarg_size 464
		.amdhsa_user_sgpr_count 6
		.amdhsa_user_sgpr_private_segment_buffer 1
		.amdhsa_user_sgpr_dispatch_ptr 0
		.amdhsa_user_sgpr_queue_ptr 0
		.amdhsa_user_sgpr_kernarg_segment_ptr 1
		.amdhsa_user_sgpr_dispatch_id 0
		.amdhsa_user_sgpr_flat_scratch_init 0
		.amdhsa_user_sgpr_kernarg_preload_length 0
		.amdhsa_user_sgpr_kernarg_preload_offset 0
		.amdhsa_user_sgpr_private_segment_size 0
		.amdhsa_uses_dynamic_stack 0
		.amdhsa_system_sgpr_private_segment_wavefront_offset 0
		.amdhsa_system_sgpr_workgroup_id_x 1
		.amdhsa_system_sgpr_workgroup_id_y 0
		.amdhsa_system_sgpr_workgroup_id_z 0
		.amdhsa_system_sgpr_workgroup_info 0
		.amdhsa_system_vgpr_workitem_id 1
		.amdhsa_next_free_vgpr 324
		.amdhsa_next_free_sgpr 96
		.amdhsa_accum_offset 256
		.amdhsa_reserve_vcc 1
		.amdhsa_reserve_flat_scratch 0
		.amdhsa_float_round_mode_32 0
		.amdhsa_float_round_mode_16_64 0
		.amdhsa_float_denorm_mode_32 3
		.amdhsa_float_denorm_mode_16_64 3
		.amdhsa_dx10_clamp 1
		.amdhsa_ieee_mode 1
		.amdhsa_fp16_overflow 0
		.amdhsa_tg_split 0
		.amdhsa_exception_fp_ieee_invalid_op 0
		.amdhsa_exception_fp_denorm_src 0
		.amdhsa_exception_fp_ieee_div_zero 0
		.amdhsa_exception_fp_ieee_overflow 0
		.amdhsa_exception_fp_ieee_underflow 0
		.amdhsa_exception_fp_ieee_inexact 0
		.amdhsa_exception_int_div_zero 0
	.end_amdhsa_kernel
	.section	.text._ZL18flash_attn_ext_f16ILi192ELi128ELi2ELi16ELb0ELb0EEvPKcS1_S1_S1_S1_PKiPfP15HIP_vector_typeIfLj2EEffffjfiS5_IjLj3EEiiiiiiiiiiiliiliiiiil,"axG",@progbits,_ZL18flash_attn_ext_f16ILi192ELi128ELi2ELi16ELb0ELb0EEvPKcS1_S1_S1_S1_PKiPfP15HIP_vector_typeIfLj2EEffffjfiS5_IjLj3EEiiiiiiiiiiiliiliiiiil,comdat
.Lfunc_end0:
	.size	_ZL18flash_attn_ext_f16ILi192ELi128ELi2ELi16ELb0ELb0EEvPKcS1_S1_S1_S1_PKiPfP15HIP_vector_typeIfLj2EEffffjfiS5_IjLj3EEiiiiiiiiiiiliiliiiiil, .Lfunc_end0-_ZL18flash_attn_ext_f16ILi192ELi128ELi2ELi16ELb0ELb0EEvPKcS1_S1_S1_S1_PKiPfP15HIP_vector_typeIfLj2EEffffjfiS5_IjLj3EEiiiiiiiiiiiliiliiiiil
                                        ; -- End function
	.section	.AMDGPU.csdata,"",@progbits
; Kernel info:
; codeLenInByte = 59568
; NumSgprs: 100
; NumVgprs: 256
; NumAgprs: 68
; TotalNumVgprs: 324
; ScratchSize: 0
; MemoryBound: 0
; FloatMode: 240
; IeeeMode: 1
; LDSByteSize: 0 bytes/workgroup (compile time only)
; SGPRBlocks: 12
; VGPRBlocks: 40
; NumSGPRsForWavesPerEU: 100
; NumVGPRsForWavesPerEU: 324
; AccumOffset: 256
; Occupancy: 1
; WaveLimiterHint : 0
; COMPUTE_PGM_RSRC2:SCRATCH_EN: 0
; COMPUTE_PGM_RSRC2:USER_SGPR: 6
; COMPUTE_PGM_RSRC2:TRAP_HANDLER: 0
; COMPUTE_PGM_RSRC2:TGID_X_EN: 1
; COMPUTE_PGM_RSRC2:TGID_Y_EN: 0
; COMPUTE_PGM_RSRC2:TGID_Z_EN: 0
; COMPUTE_PGM_RSRC2:TIDIG_COMP_CNT: 1
; COMPUTE_PGM_RSRC3_GFX90A:ACCUM_OFFSET: 63
; COMPUTE_PGM_RSRC3_GFX90A:TG_SPLIT: 0
	.text
	.p2align	2                               ; -- Begin function __ockl_printf_append_string_n
	.type	__ockl_printf_append_string_n,@function
__ockl_printf_append_string_n:          ; @__ockl_printf_append_string_n
; %bb.0:
	s_waitcnt vmcnt(0) expcnt(0) lgkmcnt(0)
	v_mov_b32_e32 v7, v3
	v_mov_b32_e32 v6, v2
	v_mov_b32_e32 v3, v0
	s_mov_b64 s[6:7], 0
	v_cmp_ne_u64_e32 vcc, 0, v[6:7]
	v_mbcnt_lo_u32_b32 v2, -1, 0
	s_and_saveexec_b64 s[4:5], vcc
	s_xor_b64 s[10:11], exec, s[4:5]
	s_cbranch_execz .LBB1_86
; %bb.1:
	s_load_dwordx2 s[12:13], s[8:9], 0x50
	v_and_b32_e32 v28, 2, v3
	s_mov_b32 s22, 0
	v_mov_b32_e32 v31, 0
	v_and_b32_e32 v0, -3, v3
	v_mbcnt_hi_u32_b32 v32, -1, v2
	s_movk_i32 s23, 0xff1f
	v_mov_b32_e32 v10, 2
	v_mov_b32_e32 v11, 1
	s_branch .LBB1_3
.LBB1_2:                                ;   in Loop: Header=BB1_3 Depth=1
	s_or_b64 exec, exec, s[16:17]
	v_sub_co_u32_e32 v4, vcc, v4, v34
	v_subb_co_u32_e32 v5, vcc, v5, v35, vcc
	v_cmp_eq_u64_e32 vcc, 0, v[4:5]
	s_or_b64 s[6:7], vcc, s[6:7]
	v_add_co_u32_e32 v6, vcc, v6, v34
	v_addc_co_u32_e32 v7, vcc, v7, v35, vcc
	s_andn2_b64 exec, exec, s[6:7]
	s_cbranch_execz .LBB1_85
.LBB1_3:                                ; =>This Loop Header: Depth=1
                                        ;     Child Loop BB1_6 Depth 2
                                        ;     Child Loop BB1_14 Depth 2
	;; [unrolled: 1-line block ×11, first 2 shown]
	v_cmp_gt_u64_e32 vcc, 56, v[4:5]
	v_cndmask_b32_e32 v35, 0, v5, vcc
	v_cndmask_b32_e32 v34, 56, v4, vcc
	v_cmp_gt_u64_e32 vcc, 8, v[4:5]
                                        ; implicit-def: $vgpr2_vgpr3
                                        ; implicit-def: $sgpr14
	s_and_saveexec_b64 s[4:5], vcc
	s_xor_b64 s[4:5], exec, s[4:5]
	s_cbranch_execz .LBB1_9
; %bb.4:                                ;   in Loop: Header=BB1_3 Depth=1
	s_mov_b64 s[16:17], 0
	v_cmp_ne_u64_e32 vcc, 0, v[4:5]
	s_waitcnt vmcnt(0)
	v_pk_mov_b32 v[2:3], 0, 0
	s_and_saveexec_b64 s[14:15], vcc
	s_cbranch_execz .LBB1_8
; %bb.5:                                ;   in Loop: Header=BB1_3 Depth=1
	v_lshlrev_b64 v[8:9], 3, v[34:35]
	v_pk_mov_b32 v[2:3], 0, 0
	v_pk_mov_b32 v[12:13], v[6:7], v[6:7] op_sel:[0,1]
	s_mov_b64 s[18:19], 0
.LBB1_6:                                ;   Parent Loop BB1_3 Depth=1
                                        ; =>  This Inner Loop Header: Depth=2
	flat_load_ubyte v9, v[12:13]
	v_mov_b32_e32 v15, s22
	v_add_co_u32_e32 v12, vcc, 1, v12
	v_addc_co_u32_e32 v13, vcc, 0, v13, vcc
	s_waitcnt vmcnt(0) lgkmcnt(0)
	v_and_b32_e32 v14, 0xffff, v9
	v_lshlrev_b64 v[14:15], s18, v[14:15]
	s_add_u32 s18, s18, 8
	s_addc_u32 s19, s19, 0
	v_cmp_eq_u32_e32 vcc, s18, v8
	v_or_b32_e32 v3, v15, v3
	s_or_b64 s[16:17], vcc, s[16:17]
	v_or_b32_e32 v2, v14, v2
	s_andn2_b64 exec, exec, s[16:17]
	s_cbranch_execnz .LBB1_6
; %bb.7:                                ;   in Loop: Header=BB1_3 Depth=1
	s_or_b64 exec, exec, s[16:17]
.LBB1_8:                                ;   in Loop: Header=BB1_3 Depth=1
	s_or_b64 exec, exec, s[14:15]
	s_mov_b32 s14, 0
.LBB1_9:                                ;   in Loop: Header=BB1_3 Depth=1
	s_or_saveexec_b64 s[4:5], s[4:5]
	v_mov_b32_e32 v14, s14
	v_pk_mov_b32 v[8:9], v[6:7], v[6:7] op_sel:[0,1]
	s_xor_b64 exec, exec, s[4:5]
	s_cbranch_execz .LBB1_11
; %bb.10:                               ;   in Loop: Header=BB1_3 Depth=1
	s_waitcnt vmcnt(0)
	flat_load_dwordx2 v[2:3], v[6:7]
	v_add_u32_e32 v14, -8, v34
	s_waitcnt vmcnt(0) lgkmcnt(0)
	v_and_b32_e32 v8, 0xff, v3
	v_and_b32_e32 v9, 0xff00, v3
	;; [unrolled: 1-line block ×4, first 2 shown]
	v_or_b32_e32 v8, v8, v9
	v_or3_b32 v3, v8, v12, v3
	v_add_co_u32_e32 v8, vcc, 8, v6
	v_or3_b32 v2, v2, 0, 0
	v_addc_co_u32_e32 v9, vcc, 0, v7, vcc
.LBB1_11:                               ;   in Loop: Header=BB1_3 Depth=1
	s_or_b64 exec, exec, s[4:5]
	v_cmp_gt_u32_e32 vcc, 8, v14
                                        ; implicit-def: $vgpr12_vgpr13
                                        ; implicit-def: $sgpr14
	s_and_saveexec_b64 s[4:5], vcc
	s_xor_b64 s[4:5], exec, s[4:5]
	s_cbranch_execz .LBB1_17
; %bb.12:                               ;   in Loop: Header=BB1_3 Depth=1
	v_cmp_ne_u32_e32 vcc, 0, v14
	v_pk_mov_b32 v[12:13], 0, 0
	s_and_saveexec_b64 s[14:15], vcc
	s_cbranch_execz .LBB1_16
; %bb.13:                               ;   in Loop: Header=BB1_3 Depth=1
	s_mov_b64 s[16:17], 0
	v_pk_mov_b32 v[12:13], 0, 0
	s_mov_b64 s[18:19], 0
	s_mov_b64 s[20:21], 0
.LBB1_14:                               ;   Parent Loop BB1_3 Depth=1
                                        ; =>  This Inner Loop Header: Depth=2
	v_mov_b32_e32 v15, s21
	v_add_co_u32_e32 v16, vcc, s20, v8
	v_addc_co_u32_e32 v17, vcc, v9, v15, vcc
	flat_load_ubyte v15, v[16:17]
	s_add_u32 s20, s20, 1
	v_mov_b32_e32 v17, s22
	s_addc_u32 s21, s21, 0
	v_cmp_eq_u32_e32 vcc, s20, v14
	s_waitcnt vmcnt(0) lgkmcnt(0)
	v_and_b32_e32 v16, 0xffff, v15
	v_lshlrev_b64 v[16:17], s18, v[16:17]
	s_add_u32 s18, s18, 8
	s_addc_u32 s19, s19, 0
	v_or_b32_e32 v13, v17, v13
	s_or_b64 s[16:17], vcc, s[16:17]
	v_or_b32_e32 v12, v16, v12
	s_andn2_b64 exec, exec, s[16:17]
	s_cbranch_execnz .LBB1_14
; %bb.15:                               ;   in Loop: Header=BB1_3 Depth=1
	s_or_b64 exec, exec, s[16:17]
.LBB1_16:                               ;   in Loop: Header=BB1_3 Depth=1
	s_or_b64 exec, exec, s[14:15]
	s_mov_b32 s14, 0
                                        ; implicit-def: $vgpr14
.LBB1_17:                               ;   in Loop: Header=BB1_3 Depth=1
	s_or_saveexec_b64 s[4:5], s[4:5]
	v_mov_b32_e32 v16, s14
	s_xor_b64 exec, exec, s[4:5]
	s_cbranch_execz .LBB1_19
; %bb.18:                               ;   in Loop: Header=BB1_3 Depth=1
	flat_load_dwordx2 v[12:13], v[8:9]
	v_add_u32_e32 v16, -8, v14
	v_add_co_u32_e32 v8, vcc, 8, v8
	v_addc_co_u32_e32 v9, vcc, 0, v9, vcc
	s_waitcnt vmcnt(0) lgkmcnt(0)
	v_and_b32_e32 v14, 0xff, v13
	v_and_b32_e32 v15, 0xff00, v13
	;; [unrolled: 1-line block ×4, first 2 shown]
	v_or_b32_e32 v14, v14, v15
	v_or3_b32 v12, v12, 0, 0
	v_or3_b32 v13, v14, v17, v13
.LBB1_19:                               ;   in Loop: Header=BB1_3 Depth=1
	s_or_b64 exec, exec, s[4:5]
	v_cmp_gt_u32_e32 vcc, 8, v16
                                        ; implicit-def: $sgpr14
	s_and_saveexec_b64 s[4:5], vcc
	s_xor_b64 s[4:5], exec, s[4:5]
	s_cbranch_execz .LBB1_25
; %bb.20:                               ;   in Loop: Header=BB1_3 Depth=1
	v_cmp_ne_u32_e32 vcc, 0, v16
	v_pk_mov_b32 v[14:15], 0, 0
	s_and_saveexec_b64 s[14:15], vcc
	s_cbranch_execz .LBB1_24
; %bb.21:                               ;   in Loop: Header=BB1_3 Depth=1
	s_mov_b64 s[16:17], 0
	v_pk_mov_b32 v[14:15], 0, 0
	s_mov_b64 s[18:19], 0
	s_mov_b64 s[20:21], 0
.LBB1_22:                               ;   Parent Loop BB1_3 Depth=1
                                        ; =>  This Inner Loop Header: Depth=2
	v_mov_b32_e32 v17, s21
	v_add_co_u32_e32 v18, vcc, s20, v8
	v_addc_co_u32_e32 v19, vcc, v9, v17, vcc
	flat_load_ubyte v17, v[18:19]
	s_add_u32 s20, s20, 1
	v_mov_b32_e32 v19, s22
	s_addc_u32 s21, s21, 0
	v_cmp_eq_u32_e32 vcc, s20, v16
	s_waitcnt vmcnt(0) lgkmcnt(0)
	v_and_b32_e32 v18, 0xffff, v17
	v_lshlrev_b64 v[18:19], s18, v[18:19]
	s_add_u32 s18, s18, 8
	s_addc_u32 s19, s19, 0
	v_or_b32_e32 v15, v19, v15
	s_or_b64 s[16:17], vcc, s[16:17]
	v_or_b32_e32 v14, v18, v14
	s_andn2_b64 exec, exec, s[16:17]
	s_cbranch_execnz .LBB1_22
; %bb.23:                               ;   in Loop: Header=BB1_3 Depth=1
	s_or_b64 exec, exec, s[16:17]
.LBB1_24:                               ;   in Loop: Header=BB1_3 Depth=1
	s_or_b64 exec, exec, s[14:15]
	s_mov_b32 s14, 0
                                        ; implicit-def: $vgpr16
.LBB1_25:                               ;   in Loop: Header=BB1_3 Depth=1
	s_or_saveexec_b64 s[4:5], s[4:5]
	v_mov_b32_e32 v18, s14
	s_xor_b64 exec, exec, s[4:5]
	s_cbranch_execz .LBB1_27
; %bb.26:                               ;   in Loop: Header=BB1_3 Depth=1
	flat_load_dwordx2 v[14:15], v[8:9]
	v_add_u32_e32 v18, -8, v16
	v_add_co_u32_e32 v8, vcc, 8, v8
	v_addc_co_u32_e32 v9, vcc, 0, v9, vcc
	s_waitcnt vmcnt(0) lgkmcnt(0)
	v_and_b32_e32 v16, 0xff, v15
	v_and_b32_e32 v17, 0xff00, v15
	;; [unrolled: 1-line block ×4, first 2 shown]
	v_or_b32_e32 v16, v16, v17
	v_or3_b32 v14, v14, 0, 0
	v_or3_b32 v15, v16, v19, v15
.LBB1_27:                               ;   in Loop: Header=BB1_3 Depth=1
	s_or_b64 exec, exec, s[4:5]
	v_cmp_gt_u32_e32 vcc, 8, v18
                                        ; implicit-def: $vgpr16_vgpr17
                                        ; implicit-def: $sgpr14
	s_and_saveexec_b64 s[4:5], vcc
	s_xor_b64 s[4:5], exec, s[4:5]
	s_cbranch_execz .LBB1_33
; %bb.28:                               ;   in Loop: Header=BB1_3 Depth=1
	v_cmp_ne_u32_e32 vcc, 0, v18
	v_pk_mov_b32 v[16:17], 0, 0
	s_and_saveexec_b64 s[14:15], vcc
	s_cbranch_execz .LBB1_32
; %bb.29:                               ;   in Loop: Header=BB1_3 Depth=1
	s_mov_b64 s[16:17], 0
	v_pk_mov_b32 v[16:17], 0, 0
	s_mov_b64 s[18:19], 0
	s_mov_b64 s[20:21], 0
.LBB1_30:                               ;   Parent Loop BB1_3 Depth=1
                                        ; =>  This Inner Loop Header: Depth=2
	v_mov_b32_e32 v19, s21
	v_add_co_u32_e32 v20, vcc, s20, v8
	v_addc_co_u32_e32 v21, vcc, v9, v19, vcc
	flat_load_ubyte v19, v[20:21]
	s_add_u32 s20, s20, 1
	v_mov_b32_e32 v21, s22
	s_addc_u32 s21, s21, 0
	v_cmp_eq_u32_e32 vcc, s20, v18
	s_waitcnt vmcnt(0) lgkmcnt(0)
	v_and_b32_e32 v20, 0xffff, v19
	v_lshlrev_b64 v[20:21], s18, v[20:21]
	s_add_u32 s18, s18, 8
	s_addc_u32 s19, s19, 0
	v_or_b32_e32 v17, v21, v17
	s_or_b64 s[16:17], vcc, s[16:17]
	v_or_b32_e32 v16, v20, v16
	s_andn2_b64 exec, exec, s[16:17]
	s_cbranch_execnz .LBB1_30
; %bb.31:                               ;   in Loop: Header=BB1_3 Depth=1
	s_or_b64 exec, exec, s[16:17]
.LBB1_32:                               ;   in Loop: Header=BB1_3 Depth=1
	s_or_b64 exec, exec, s[14:15]
	s_mov_b32 s14, 0
                                        ; implicit-def: $vgpr18
.LBB1_33:                               ;   in Loop: Header=BB1_3 Depth=1
	s_or_saveexec_b64 s[4:5], s[4:5]
	v_mov_b32_e32 v20, s14
	s_xor_b64 exec, exec, s[4:5]
	s_cbranch_execz .LBB1_35
; %bb.34:                               ;   in Loop: Header=BB1_3 Depth=1
	flat_load_dwordx2 v[16:17], v[8:9]
	v_add_u32_e32 v20, -8, v18
	v_add_co_u32_e32 v8, vcc, 8, v8
	v_addc_co_u32_e32 v9, vcc, 0, v9, vcc
	s_waitcnt vmcnt(0) lgkmcnt(0)
	v_and_b32_e32 v18, 0xff, v17
	v_and_b32_e32 v19, 0xff00, v17
	;; [unrolled: 1-line block ×4, first 2 shown]
	v_or_b32_e32 v18, v18, v19
	v_or3_b32 v16, v16, 0, 0
	v_or3_b32 v17, v18, v21, v17
.LBB1_35:                               ;   in Loop: Header=BB1_3 Depth=1
	s_or_b64 exec, exec, s[4:5]
	v_cmp_gt_u32_e32 vcc, 8, v20
                                        ; implicit-def: $sgpr14
	s_and_saveexec_b64 s[4:5], vcc
	s_xor_b64 s[4:5], exec, s[4:5]
	s_cbranch_execz .LBB1_41
; %bb.36:                               ;   in Loop: Header=BB1_3 Depth=1
	v_cmp_ne_u32_e32 vcc, 0, v20
	v_pk_mov_b32 v[18:19], 0, 0
	s_and_saveexec_b64 s[14:15], vcc
	s_cbranch_execz .LBB1_40
; %bb.37:                               ;   in Loop: Header=BB1_3 Depth=1
	s_mov_b64 s[16:17], 0
	v_pk_mov_b32 v[18:19], 0, 0
	s_mov_b64 s[18:19], 0
	s_mov_b64 s[20:21], 0
.LBB1_38:                               ;   Parent Loop BB1_3 Depth=1
                                        ; =>  This Inner Loop Header: Depth=2
	v_mov_b32_e32 v21, s21
	v_add_co_u32_e32 v22, vcc, s20, v8
	v_addc_co_u32_e32 v23, vcc, v9, v21, vcc
	flat_load_ubyte v21, v[22:23]
	s_add_u32 s20, s20, 1
	v_mov_b32_e32 v23, s22
	s_addc_u32 s21, s21, 0
	v_cmp_eq_u32_e32 vcc, s20, v20
	s_waitcnt vmcnt(0) lgkmcnt(0)
	v_and_b32_e32 v22, 0xffff, v21
	v_lshlrev_b64 v[22:23], s18, v[22:23]
	s_add_u32 s18, s18, 8
	s_addc_u32 s19, s19, 0
	v_or_b32_e32 v19, v23, v19
	s_or_b64 s[16:17], vcc, s[16:17]
	v_or_b32_e32 v18, v22, v18
	s_andn2_b64 exec, exec, s[16:17]
	s_cbranch_execnz .LBB1_38
; %bb.39:                               ;   in Loop: Header=BB1_3 Depth=1
	s_or_b64 exec, exec, s[16:17]
.LBB1_40:                               ;   in Loop: Header=BB1_3 Depth=1
	s_or_b64 exec, exec, s[14:15]
	s_mov_b32 s14, 0
                                        ; implicit-def: $vgpr20
.LBB1_41:                               ;   in Loop: Header=BB1_3 Depth=1
	s_or_saveexec_b64 s[4:5], s[4:5]
	v_mov_b32_e32 v22, s14
	s_xor_b64 exec, exec, s[4:5]
	s_cbranch_execz .LBB1_43
; %bb.42:                               ;   in Loop: Header=BB1_3 Depth=1
	flat_load_dwordx2 v[18:19], v[8:9]
	v_add_u32_e32 v22, -8, v20
	v_add_co_u32_e32 v8, vcc, 8, v8
	v_addc_co_u32_e32 v9, vcc, 0, v9, vcc
	s_waitcnt vmcnt(0) lgkmcnt(0)
	v_and_b32_e32 v20, 0xff, v19
	v_and_b32_e32 v21, 0xff00, v19
	;; [unrolled: 1-line block ×4, first 2 shown]
	v_or_b32_e32 v20, v20, v21
	v_or3_b32 v18, v18, 0, 0
	v_or3_b32 v19, v20, v23, v19
.LBB1_43:                               ;   in Loop: Header=BB1_3 Depth=1
	s_or_b64 exec, exec, s[4:5]
	v_cmp_gt_u32_e32 vcc, 8, v22
                                        ; implicit-def: $vgpr20_vgpr21
                                        ; implicit-def: $sgpr14
	s_and_saveexec_b64 s[4:5], vcc
	s_xor_b64 s[4:5], exec, s[4:5]
	s_cbranch_execz .LBB1_49
; %bb.44:                               ;   in Loop: Header=BB1_3 Depth=1
	v_cmp_ne_u32_e32 vcc, 0, v22
	v_pk_mov_b32 v[20:21], 0, 0
	s_and_saveexec_b64 s[14:15], vcc
	s_cbranch_execz .LBB1_48
; %bb.45:                               ;   in Loop: Header=BB1_3 Depth=1
	s_mov_b64 s[16:17], 0
	v_pk_mov_b32 v[20:21], 0, 0
	s_mov_b64 s[18:19], 0
	s_mov_b64 s[20:21], 0
.LBB1_46:                               ;   Parent Loop BB1_3 Depth=1
                                        ; =>  This Inner Loop Header: Depth=2
	v_mov_b32_e32 v23, s21
	v_add_co_u32_e32 v24, vcc, s20, v8
	v_addc_co_u32_e32 v25, vcc, v9, v23, vcc
	flat_load_ubyte v23, v[24:25]
	s_add_u32 s20, s20, 1
	v_mov_b32_e32 v25, s22
	s_addc_u32 s21, s21, 0
	v_cmp_eq_u32_e32 vcc, s20, v22
	s_waitcnt vmcnt(0) lgkmcnt(0)
	v_and_b32_e32 v24, 0xffff, v23
	v_lshlrev_b64 v[24:25], s18, v[24:25]
	s_add_u32 s18, s18, 8
	s_addc_u32 s19, s19, 0
	v_or_b32_e32 v21, v25, v21
	s_or_b64 s[16:17], vcc, s[16:17]
	v_or_b32_e32 v20, v24, v20
	s_andn2_b64 exec, exec, s[16:17]
	s_cbranch_execnz .LBB1_46
; %bb.47:                               ;   in Loop: Header=BB1_3 Depth=1
	s_or_b64 exec, exec, s[16:17]
.LBB1_48:                               ;   in Loop: Header=BB1_3 Depth=1
	s_or_b64 exec, exec, s[14:15]
	s_mov_b32 s14, 0
                                        ; implicit-def: $vgpr22
.LBB1_49:                               ;   in Loop: Header=BB1_3 Depth=1
	s_or_saveexec_b64 s[4:5], s[4:5]
	v_mov_b32_e32 v24, s14
	s_xor_b64 exec, exec, s[4:5]
	s_cbranch_execz .LBB1_51
; %bb.50:                               ;   in Loop: Header=BB1_3 Depth=1
	flat_load_dwordx2 v[20:21], v[8:9]
	v_add_u32_e32 v24, -8, v22
	v_add_co_u32_e32 v8, vcc, 8, v8
	v_addc_co_u32_e32 v9, vcc, 0, v9, vcc
	s_waitcnt vmcnt(0) lgkmcnt(0)
	v_and_b32_e32 v22, 0xff, v21
	v_and_b32_e32 v23, 0xff00, v21
	;; [unrolled: 1-line block ×4, first 2 shown]
	v_or_b32_e32 v22, v22, v23
	v_or3_b32 v20, v20, 0, 0
	v_or3_b32 v21, v22, v25, v21
.LBB1_51:                               ;   in Loop: Header=BB1_3 Depth=1
	s_or_b64 exec, exec, s[4:5]
	v_cmp_gt_u32_e32 vcc, 8, v24
	s_and_saveexec_b64 s[4:5], vcc
	s_xor_b64 s[4:5], exec, s[4:5]
	s_cbranch_execz .LBB1_57
; %bb.52:                               ;   in Loop: Header=BB1_3 Depth=1
	v_cmp_ne_u32_e32 vcc, 0, v24
	v_pk_mov_b32 v[22:23], 0, 0
	s_and_saveexec_b64 s[14:15], vcc
	s_cbranch_execz .LBB1_56
; %bb.53:                               ;   in Loop: Header=BB1_3 Depth=1
	s_mov_b64 s[16:17], 0
	v_pk_mov_b32 v[22:23], 0, 0
	s_mov_b64 s[18:19], 0
.LBB1_54:                               ;   Parent Loop BB1_3 Depth=1
                                        ; =>  This Inner Loop Header: Depth=2
	flat_load_ubyte v25, v[8:9]
	v_mov_b32_e32 v27, s22
	v_add_co_u32_e32 v8, vcc, 1, v8
	v_add_u32_e32 v24, -1, v24
	v_addc_co_u32_e32 v9, vcc, 0, v9, vcc
	v_cmp_eq_u32_e32 vcc, 0, v24
	s_waitcnt vmcnt(0) lgkmcnt(0)
	v_and_b32_e32 v26, 0xffff, v25
	v_lshlrev_b64 v[26:27], s18, v[26:27]
	s_add_u32 s18, s18, 8
	s_addc_u32 s19, s19, 0
	v_or_b32_e32 v23, v27, v23
	s_or_b64 s[16:17], vcc, s[16:17]
	v_or_b32_e32 v22, v26, v22
	s_andn2_b64 exec, exec, s[16:17]
	s_cbranch_execnz .LBB1_54
; %bb.55:                               ;   in Loop: Header=BB1_3 Depth=1
	s_or_b64 exec, exec, s[16:17]
.LBB1_56:                               ;   in Loop: Header=BB1_3 Depth=1
	s_or_b64 exec, exec, s[14:15]
                                        ; implicit-def: $vgpr8_vgpr9
.LBB1_57:                               ;   in Loop: Header=BB1_3 Depth=1
	s_andn2_saveexec_b64 s[4:5], s[4:5]
	s_cbranch_execz .LBB1_59
; %bb.58:                               ;   in Loop: Header=BB1_3 Depth=1
	flat_load_dwordx2 v[8:9], v[8:9]
	s_waitcnt vmcnt(0) lgkmcnt(0)
	v_and_b32_e32 v22, 0xff, v9
	v_and_b32_e32 v23, 0xff00, v9
	;; [unrolled: 1-line block ×4, first 2 shown]
	v_or_b32_e32 v22, v22, v23
	v_or3_b32 v23, v22, v24, v9
	v_or3_b32 v22, v8, 0, 0
.LBB1_59:                               ;   in Loop: Header=BB1_3 Depth=1
	s_or_b64 exec, exec, s[4:5]
	v_readfirstlane_b32 s4, v32
	v_cmp_eq_u32_e64 s[4:5], s4, v32
	v_pk_mov_b32 v[8:9], 0, 0
	s_and_saveexec_b64 s[14:15], s[4:5]
	s_cbranch_execz .LBB1_65
; %bb.60:                               ;   in Loop: Header=BB1_3 Depth=1
	s_waitcnt lgkmcnt(0)
	global_load_dwordx2 v[26:27], v31, s[12:13] offset:24 glc
	s_waitcnt vmcnt(0)
	buffer_invl2
	buffer_wbinvl1_vol
	global_load_dwordx2 v[8:9], v31, s[12:13] offset:40
	global_load_dwordx2 v[24:25], v31, s[12:13]
	s_waitcnt vmcnt(1)
	v_and_b32_e32 v8, v8, v26
	v_and_b32_e32 v9, v9, v27
	v_mul_lo_u32 v9, v9, 24
	v_mul_hi_u32 v29, v8, 24
	v_mul_lo_u32 v8, v8, 24
	v_add_u32_e32 v9, v29, v9
	s_waitcnt vmcnt(0)
	v_add_co_u32_e32 v8, vcc, v24, v8
	v_addc_co_u32_e32 v9, vcc, v25, v9, vcc
	global_load_dwordx2 v[24:25], v[8:9], off glc
	s_waitcnt vmcnt(0)
	global_atomic_cmpswap_x2 v[8:9], v31, v[24:27], s[12:13] offset:24 glc
	s_waitcnt vmcnt(0)
	buffer_invl2
	buffer_wbinvl1_vol
	v_cmp_ne_u64_e32 vcc, v[8:9], v[26:27]
	s_and_saveexec_b64 s[16:17], vcc
	s_cbranch_execz .LBB1_64
; %bb.61:                               ;   in Loop: Header=BB1_3 Depth=1
	s_mov_b64 s[18:19], 0
.LBB1_62:                               ;   Parent Loop BB1_3 Depth=1
                                        ; =>  This Inner Loop Header: Depth=2
	s_sleep 1
	global_load_dwordx2 v[24:25], v31, s[12:13] offset:40
	global_load_dwordx2 v[36:37], v31, s[12:13]
	v_pk_mov_b32 v[26:27], v[8:9], v[8:9] op_sel:[0,1]
	s_waitcnt vmcnt(1)
	v_and_b32_e32 v8, v24, v26
	s_waitcnt vmcnt(0)
	v_mad_u64_u32 v[8:9], s[20:21], v8, 24, v[36:37]
	v_and_b32_e32 v25, v25, v27
	v_mov_b32_e32 v24, v9
	v_mad_u64_u32 v[24:25], s[20:21], v25, 24, v[24:25]
	v_mov_b32_e32 v9, v24
	global_load_dwordx2 v[24:25], v[8:9], off glc
	s_waitcnt vmcnt(0)
	global_atomic_cmpswap_x2 v[8:9], v31, v[24:27], s[12:13] offset:24 glc
	s_waitcnt vmcnt(0)
	buffer_invl2
	buffer_wbinvl1_vol
	v_cmp_eq_u64_e32 vcc, v[8:9], v[26:27]
	s_or_b64 s[18:19], vcc, s[18:19]
	s_andn2_b64 exec, exec, s[18:19]
	s_cbranch_execnz .LBB1_62
; %bb.63:                               ;   in Loop: Header=BB1_3 Depth=1
	s_or_b64 exec, exec, s[18:19]
.LBB1_64:                               ;   in Loop: Header=BB1_3 Depth=1
	s_or_b64 exec, exec, s[16:17]
.LBB1_65:                               ;   in Loop: Header=BB1_3 Depth=1
	s_or_b64 exec, exec, s[14:15]
	s_waitcnt lgkmcnt(0)
	global_load_dwordx2 v[36:37], v31, s[12:13] offset:40
	global_load_dwordx4 v[24:27], v31, s[12:13]
	v_readfirstlane_b32 s14, v8
	v_readfirstlane_b32 s15, v9
	s_mov_b64 s[16:17], exec
	s_waitcnt vmcnt(1)
	v_readfirstlane_b32 s18, v36
	v_readfirstlane_b32 s19, v37
	s_and_b64 s[18:19], s[14:15], s[18:19]
	s_mul_i32 s20, s19, 24
	s_mul_hi_u32 s21, s18, 24
	s_mul_i32 s24, s18, 24
	s_add_i32 s20, s21, s20
	v_mov_b32_e32 v8, s20
	s_waitcnt vmcnt(0)
	v_add_co_u32_e32 v36, vcc, s24, v24
	v_addc_co_u32_e32 v37, vcc, v25, v8, vcc
	s_and_saveexec_b64 s[20:21], s[4:5]
	s_cbranch_execz .LBB1_67
; %bb.66:                               ;   in Loop: Header=BB1_3 Depth=1
	v_pk_mov_b32 v[8:9], s[16:17], s[16:17] op_sel:[0,1]
	global_store_dwordx4 v[36:37], v[8:11], off offset:8
.LBB1_67:                               ;   in Loop: Header=BB1_3 Depth=1
	s_or_b64 exec, exec, s[20:21]
	s_lshl_b64 s[16:17], s[18:19], 12
	v_mov_b32_e32 v9, s17
	v_add_co_u32_e32 v8, vcc, s16, v26
	v_addc_co_u32_e32 v9, vcc, v27, v9, vcc
	v_or_b32_e32 v26, 0, v1
	v_cmp_lt_u64_e32 vcc, 56, v[4:5]
	v_or_b32_e32 v27, v0, v28
	v_cndmask_b32_e32 v1, v26, v1, vcc
	v_lshl_add_u32 v26, v34, 2, 28
	v_cndmask_b32_e32 v0, v27, v0, vcc
	v_and_b32_e32 v26, 0x1e0, v26
	v_and_or_b32 v0, v0, s23, v26
	v_lshlrev_b32_e32 v26, 6, v32
	v_readfirstlane_b32 s16, v8
	v_readfirstlane_b32 s17, v9
	s_nop 4
	global_store_dwordx4 v26, v[0:3], s[16:17]
	global_store_dwordx4 v26, v[12:15], s[16:17] offset:16
	global_store_dwordx4 v26, v[16:19], s[16:17] offset:32
	;; [unrolled: 1-line block ×3, first 2 shown]
	s_and_saveexec_b64 s[16:17], s[4:5]
	s_cbranch_execz .LBB1_75
; %bb.68:                               ;   in Loop: Header=BB1_3 Depth=1
	global_load_dwordx2 v[16:17], v31, s[12:13] offset:32 glc
	global_load_dwordx2 v[0:1], v31, s[12:13] offset:40
	v_mov_b32_e32 v14, s14
	v_mov_b32_e32 v15, s15
	s_waitcnt vmcnt(0)
	v_readfirstlane_b32 s18, v0
	v_readfirstlane_b32 s19, v1
	s_and_b64 s[18:19], s[18:19], s[14:15]
	s_mul_i32 s19, s19, 24
	s_mul_hi_u32 s20, s18, 24
	s_mul_i32 s18, s18, 24
	s_add_i32 s19, s20, s19
	v_mov_b32_e32 v0, s19
	v_add_co_u32_e32 v12, vcc, s18, v24
	v_addc_co_u32_e32 v13, vcc, v25, v0, vcc
	global_store_dwordx2 v[12:13], v[16:17], off
	buffer_wbl2
	s_waitcnt vmcnt(0)
	global_atomic_cmpswap_x2 v[2:3], v31, v[14:17], s[12:13] offset:32 glc
	s_waitcnt vmcnt(0)
	v_cmp_ne_u64_e32 vcc, v[2:3], v[16:17]
	s_and_saveexec_b64 s[18:19], vcc
	s_cbranch_execz .LBB1_71
; %bb.69:                               ;   in Loop: Header=BB1_3 Depth=1
	s_mov_b64 s[20:21], 0
.LBB1_70:                               ;   Parent Loop BB1_3 Depth=1
                                        ; =>  This Inner Loop Header: Depth=2
	s_sleep 1
	global_store_dwordx2 v[12:13], v[2:3], off
	v_mov_b32_e32 v0, s14
	v_mov_b32_e32 v1, s15
	buffer_wbl2
	s_waitcnt vmcnt(0)
	global_atomic_cmpswap_x2 v[0:1], v31, v[0:3], s[12:13] offset:32 glc
	s_waitcnt vmcnt(0)
	v_cmp_eq_u64_e32 vcc, v[0:1], v[2:3]
	s_or_b64 s[20:21], vcc, s[20:21]
	v_pk_mov_b32 v[2:3], v[0:1], v[0:1] op_sel:[0,1]
	s_andn2_b64 exec, exec, s[20:21]
	s_cbranch_execnz .LBB1_70
.LBB1_71:                               ;   in Loop: Header=BB1_3 Depth=1
	s_or_b64 exec, exec, s[18:19]
	global_load_dwordx2 v[0:1], v31, s[12:13] offset:16
	s_mov_b64 s[20:21], exec
	v_mbcnt_lo_u32_b32 v2, s20, 0
	v_mbcnt_hi_u32_b32 v2, s21, v2
	v_cmp_eq_u32_e32 vcc, 0, v2
	s_and_saveexec_b64 s[18:19], vcc
	s_cbranch_execz .LBB1_73
; %bb.72:                               ;   in Loop: Header=BB1_3 Depth=1
	s_bcnt1_i32_b64 s20, s[20:21]
	v_mov_b32_e32 v30, s20
	buffer_wbl2
	s_waitcnt vmcnt(0)
	global_atomic_add_x2 v[0:1], v[30:31], off offset:8
.LBB1_73:                               ;   in Loop: Header=BB1_3 Depth=1
	s_or_b64 exec, exec, s[18:19]
	s_waitcnt vmcnt(0)
	global_load_dwordx2 v[2:3], v[0:1], off offset:16
	s_waitcnt vmcnt(0)
	v_cmp_eq_u64_e32 vcc, 0, v[2:3]
	s_cbranch_vccnz .LBB1_75
; %bb.74:                               ;   in Loop: Header=BB1_3 Depth=1
	global_load_dword v30, v[0:1], off offset:24
	s_waitcnt vmcnt(0)
	v_and_b32_e32 v0, 0xffffff, v30
	v_readfirstlane_b32 m0, v0
	buffer_wbl2
	global_store_dwordx2 v[2:3], v[30:31], off
	s_sendmsg sendmsg(MSG_INTERRUPT)
.LBB1_75:                               ;   in Loop: Header=BB1_3 Depth=1
	s_or_b64 exec, exec, s[16:17]
	v_add_co_u32_e32 v0, vcc, v8, v26
	v_addc_co_u32_e32 v1, vcc, 0, v9, vcc
	s_branch .LBB1_79
.LBB1_76:                               ;   in Loop: Header=BB1_79 Depth=2
	s_or_b64 exec, exec, s[16:17]
	v_readfirstlane_b32 s16, v2
	s_cmp_eq_u32 s16, 0
	s_cbranch_scc1 .LBB1_78
; %bb.77:                               ;   in Loop: Header=BB1_79 Depth=2
	s_sleep 1
	s_cbranch_execnz .LBB1_79
	s_branch .LBB1_81
.LBB1_78:                               ;   in Loop: Header=BB1_3 Depth=1
	s_branch .LBB1_81
.LBB1_79:                               ;   Parent Loop BB1_3 Depth=1
                                        ; =>  This Inner Loop Header: Depth=2
	v_mov_b32_e32 v2, 1
	s_and_saveexec_b64 s[16:17], s[4:5]
	s_cbranch_execz .LBB1_76
; %bb.80:                               ;   in Loop: Header=BB1_79 Depth=2
	global_load_dword v2, v[36:37], off offset:20 glc
	s_waitcnt vmcnt(0)
	buffer_invl2
	buffer_wbinvl1_vol
	v_and_b32_e32 v2, 1, v2
	s_branch .LBB1_76
.LBB1_81:                               ;   in Loop: Header=BB1_3 Depth=1
	global_load_dwordx4 v[0:3], v[0:1], off
	s_and_saveexec_b64 s[16:17], s[4:5]
	s_cbranch_execz .LBB1_2
; %bb.82:                               ;   in Loop: Header=BB1_3 Depth=1
	global_load_dwordx2 v[2:3], v31, s[12:13] offset:40
	global_load_dwordx2 v[8:9], v31, s[12:13] offset:24 glc
	global_load_dwordx2 v[16:17], v31, s[12:13]
	v_mov_b32_e32 v13, s15
	s_waitcnt vmcnt(2)
	v_add_co_u32_e32 v15, vcc, 1, v2
	v_addc_co_u32_e32 v18, vcc, 0, v3, vcc
	v_add_co_u32_e32 v12, vcc, s14, v15
	v_addc_co_u32_e32 v13, vcc, v18, v13, vcc
	v_cmp_eq_u64_e32 vcc, 0, v[12:13]
	v_cndmask_b32_e32 v13, v13, v18, vcc
	v_cndmask_b32_e32 v12, v12, v15, vcc
	v_and_b32_e32 v3, v13, v3
	v_and_b32_e32 v2, v12, v2
	v_mul_lo_u32 v3, v3, 24
	v_mul_hi_u32 v15, v2, 24
	v_mul_lo_u32 v2, v2, 24
	v_add_u32_e32 v3, v15, v3
	s_waitcnt vmcnt(0)
	v_add_co_u32_e32 v2, vcc, v16, v2
	v_addc_co_u32_e32 v3, vcc, v17, v3, vcc
	v_mov_b32_e32 v14, v8
	global_store_dwordx2 v[2:3], v[8:9], off
	v_mov_b32_e32 v15, v9
	buffer_wbl2
	s_waitcnt vmcnt(0)
	global_atomic_cmpswap_x2 v[14:15], v31, v[12:15], s[12:13] offset:24 glc
	s_waitcnt vmcnt(0)
	v_cmp_ne_u64_e32 vcc, v[14:15], v[8:9]
	s_and_b64 exec, exec, vcc
	s_cbranch_execz .LBB1_2
; %bb.83:                               ;   in Loop: Header=BB1_3 Depth=1
	s_mov_b64 s[4:5], 0
.LBB1_84:                               ;   Parent Loop BB1_3 Depth=1
                                        ; =>  This Inner Loop Header: Depth=2
	s_sleep 1
	global_store_dwordx2 v[2:3], v[14:15], off
	buffer_wbl2
	s_waitcnt vmcnt(0)
	global_atomic_cmpswap_x2 v[8:9], v31, v[12:15], s[12:13] offset:24 glc
	s_waitcnt vmcnt(0)
	v_cmp_eq_u64_e32 vcc, v[8:9], v[14:15]
	s_or_b64 s[4:5], vcc, s[4:5]
	v_pk_mov_b32 v[14:15], v[8:9], v[8:9] op_sel:[0,1]
	s_andn2_b64 exec, exec, s[4:5]
	s_cbranch_execnz .LBB1_84
	s_branch .LBB1_2
.LBB1_85:
	s_or_b64 exec, exec, s[6:7]
                                        ; implicit-def: $vgpr3
                                        ; implicit-def: $vgpr2
.LBB1_86:
	s_andn2_saveexec_b64 s[6:7], s[10:11]
	s_cbranch_execz .LBB1_109
; %bb.87:
	s_load_dwordx2 s[8:9], s[8:9], 0x50
	s_waitcnt vmcnt(0)
	v_mbcnt_hi_u32_b32 v10, -1, v2
	v_readfirstlane_b32 s4, v10
	v_cmp_eq_u32_e64 s[4:5], s4, v10
	v_pk_mov_b32 v[8:9], 0, 0
	s_and_saveexec_b64 s[10:11], s[4:5]
	s_cbranch_execz .LBB1_93
; %bb.88:
	v_mov_b32_e32 v0, 0
	s_waitcnt lgkmcnt(0)
	global_load_dwordx2 v[6:7], v0, s[8:9] offset:24 glc
	s_waitcnt vmcnt(0)
	buffer_invl2
	buffer_wbinvl1_vol
	global_load_dwordx2 v[4:5], v0, s[8:9] offset:40
	global_load_dwordx2 v[8:9], v0, s[8:9]
	s_waitcnt vmcnt(1)
	v_and_b32_e32 v2, v4, v6
	v_and_b32_e32 v4, v5, v7
	v_mul_lo_u32 v4, v4, 24
	v_mul_hi_u32 v5, v2, 24
	v_mul_lo_u32 v2, v2, 24
	v_add_u32_e32 v5, v5, v4
	s_waitcnt vmcnt(0)
	v_add_co_u32_e32 v4, vcc, v8, v2
	v_addc_co_u32_e32 v5, vcc, v9, v5, vcc
	global_load_dwordx2 v[4:5], v[4:5], off glc
	s_waitcnt vmcnt(0)
	global_atomic_cmpswap_x2 v[8:9], v0, v[4:7], s[8:9] offset:24 glc
	s_waitcnt vmcnt(0)
	buffer_invl2
	buffer_wbinvl1_vol
	v_cmp_ne_u64_e32 vcc, v[8:9], v[6:7]
	s_and_saveexec_b64 s[12:13], vcc
	s_cbranch_execz .LBB1_92
; %bb.89:
	s_mov_b64 s[14:15], 0
.LBB1_90:                               ; =>This Inner Loop Header: Depth=1
	s_sleep 1
	global_load_dwordx2 v[4:5], v0, s[8:9] offset:40
	global_load_dwordx2 v[12:13], v0, s[8:9]
	v_pk_mov_b32 v[6:7], v[8:9], v[8:9] op_sel:[0,1]
	s_waitcnt vmcnt(1)
	v_and_b32_e32 v2, v4, v6
	v_and_b32_e32 v8, v5, v7
	s_waitcnt vmcnt(0)
	v_mad_u64_u32 v[4:5], s[16:17], v2, 24, v[12:13]
	v_mov_b32_e32 v2, v5
	v_mad_u64_u32 v[8:9], s[16:17], v8, 24, v[2:3]
	v_mov_b32_e32 v5, v8
	global_load_dwordx2 v[4:5], v[4:5], off glc
	s_waitcnt vmcnt(0)
	global_atomic_cmpswap_x2 v[8:9], v0, v[4:7], s[8:9] offset:24 glc
	s_waitcnt vmcnt(0)
	buffer_invl2
	buffer_wbinvl1_vol
	v_cmp_eq_u64_e32 vcc, v[8:9], v[6:7]
	s_or_b64 s[14:15], vcc, s[14:15]
	s_andn2_b64 exec, exec, s[14:15]
	s_cbranch_execnz .LBB1_90
; %bb.91:
	s_or_b64 exec, exec, s[14:15]
.LBB1_92:
	s_or_b64 exec, exec, s[12:13]
.LBB1_93:
	s_or_b64 exec, exec, s[10:11]
	v_mov_b32_e32 v2, 0
	s_waitcnt lgkmcnt(0)
	global_load_dwordx2 v[12:13], v2, s[8:9] offset:40
	global_load_dwordx4 v[4:7], v2, s[8:9]
	v_readfirstlane_b32 s10, v8
	v_readfirstlane_b32 s11, v9
	s_mov_b64 s[12:13], exec
	s_waitcnt vmcnt(1)
	v_readfirstlane_b32 s14, v12
	v_readfirstlane_b32 s15, v13
	s_and_b64 s[14:15], s[10:11], s[14:15]
	s_mul_i32 s16, s15, 24
	s_mul_hi_u32 s17, s14, 24
	s_mul_i32 s18, s14, 24
	s_add_i32 s16, s17, s16
	v_mov_b32_e32 v0, s16
	s_waitcnt vmcnt(0)
	v_add_co_u32_e32 v8, vcc, s18, v4
	v_addc_co_u32_e32 v9, vcc, v5, v0, vcc
	s_and_saveexec_b64 s[16:17], s[4:5]
	s_cbranch_execz .LBB1_95
; %bb.94:
	v_pk_mov_b32 v[12:13], s[12:13], s[12:13] op_sel:[0,1]
	v_mov_b32_e32 v14, 2
	v_mov_b32_e32 v15, 1
	global_store_dwordx4 v[8:9], v[12:15], off offset:8
.LBB1_95:
	s_or_b64 exec, exec, s[16:17]
	s_lshl_b64 s[12:13], s[14:15], 12
	v_mov_b32_e32 v0, s13
	v_add_co_u32_e32 v12, vcc, s12, v6
	s_movk_i32 s12, 0xff1f
	v_addc_co_u32_e32 v11, vcc, v7, v0, vcc
	v_and_or_b32 v0, v3, s12, 32
	s_mov_b32 s12, 0
	v_lshlrev_b32_e32 v10, 6, v10
	v_mov_b32_e32 v3, v2
	v_readfirstlane_b32 s16, v12
	v_readfirstlane_b32 s17, v11
	s_mov_b32 s13, s12
	v_add_co_u32_e32 v6, vcc, v12, v10
	s_mov_b32 s14, s12
	s_mov_b32 s15, s12
	s_nop 0
	global_store_dwordx4 v10, v[0:3], s[16:17]
	v_addc_co_u32_e32 v7, vcc, 0, v11, vcc
	v_pk_mov_b32 v[0:1], s[12:13], s[12:13] op_sel:[0,1]
	v_pk_mov_b32 v[2:3], s[14:15], s[14:15] op_sel:[0,1]
	global_store_dwordx4 v10, v[0:3], s[16:17] offset:16
	global_store_dwordx4 v10, v[0:3], s[16:17] offset:32
	global_store_dwordx4 v10, v[0:3], s[16:17] offset:48
	s_and_saveexec_b64 s[12:13], s[4:5]
	s_cbranch_execz .LBB1_103
; %bb.96:
	v_mov_b32_e32 v10, 0
	global_load_dwordx2 v[14:15], v10, s[8:9] offset:32 glc
	global_load_dwordx2 v[0:1], v10, s[8:9] offset:40
	v_mov_b32_e32 v12, s10
	v_mov_b32_e32 v13, s11
	s_waitcnt vmcnt(0)
	v_and_b32_e32 v0, s10, v0
	v_and_b32_e32 v1, s11, v1
	v_mul_lo_u32 v1, v1, 24
	v_mul_hi_u32 v2, v0, 24
	v_mul_lo_u32 v0, v0, 24
	v_add_u32_e32 v1, v2, v1
	v_add_co_u32_e32 v4, vcc, v4, v0
	v_addc_co_u32_e32 v5, vcc, v5, v1, vcc
	global_store_dwordx2 v[4:5], v[14:15], off
	buffer_wbl2
	s_waitcnt vmcnt(0)
	global_atomic_cmpswap_x2 v[2:3], v10, v[12:15], s[8:9] offset:32 glc
	s_waitcnt vmcnt(0)
	v_cmp_ne_u64_e32 vcc, v[2:3], v[14:15]
	s_and_saveexec_b64 s[14:15], vcc
	s_cbranch_execz .LBB1_99
; %bb.97:
	s_mov_b64 s[16:17], 0
.LBB1_98:                               ; =>This Inner Loop Header: Depth=1
	s_sleep 1
	global_store_dwordx2 v[4:5], v[2:3], off
	v_mov_b32_e32 v0, s10
	v_mov_b32_e32 v1, s11
	buffer_wbl2
	s_waitcnt vmcnt(0)
	global_atomic_cmpswap_x2 v[0:1], v10, v[0:3], s[8:9] offset:32 glc
	s_waitcnt vmcnt(0)
	v_cmp_eq_u64_e32 vcc, v[0:1], v[2:3]
	s_or_b64 s[16:17], vcc, s[16:17]
	v_pk_mov_b32 v[2:3], v[0:1], v[0:1] op_sel:[0,1]
	s_andn2_b64 exec, exec, s[16:17]
	s_cbranch_execnz .LBB1_98
.LBB1_99:
	s_or_b64 exec, exec, s[14:15]
	v_mov_b32_e32 v3, 0
	global_load_dwordx2 v[0:1], v3, s[8:9] offset:16
	s_mov_b64 s[14:15], exec
	v_mbcnt_lo_u32_b32 v2, s14, 0
	v_mbcnt_hi_u32_b32 v2, s15, v2
	v_cmp_eq_u32_e32 vcc, 0, v2
	s_and_saveexec_b64 s[16:17], vcc
	s_cbranch_execz .LBB1_101
; %bb.100:
	s_bcnt1_i32_b64 s14, s[14:15]
	v_mov_b32_e32 v2, s14
	buffer_wbl2
	s_waitcnt vmcnt(0)
	global_atomic_add_x2 v[0:1], v[2:3], off offset:8
.LBB1_101:
	s_or_b64 exec, exec, s[16:17]
	s_waitcnt vmcnt(0)
	global_load_dwordx2 v[2:3], v[0:1], off offset:16
	s_waitcnt vmcnt(0)
	v_cmp_eq_u64_e32 vcc, 0, v[2:3]
	s_cbranch_vccnz .LBB1_103
; %bb.102:
	global_load_dword v0, v[0:1], off offset:24
	v_mov_b32_e32 v1, 0
	buffer_wbl2
	s_waitcnt vmcnt(0)
	global_store_dwordx2 v[2:3], v[0:1], off
	v_and_b32_e32 v0, 0xffffff, v0
	v_readfirstlane_b32 m0, v0
	s_sendmsg sendmsg(MSG_INTERRUPT)
.LBB1_103:
	s_or_b64 exec, exec, s[12:13]
	s_branch .LBB1_107
.LBB1_104:                              ;   in Loop: Header=BB1_107 Depth=1
	s_or_b64 exec, exec, s[12:13]
	v_readfirstlane_b32 s12, v0
	s_cmp_eq_u32 s12, 0
	s_cbranch_scc1 .LBB1_106
; %bb.105:                              ;   in Loop: Header=BB1_107 Depth=1
	s_sleep 1
	s_cbranch_execnz .LBB1_107
	s_branch .LBB1_110
.LBB1_106:
	s_branch .LBB1_110
.LBB1_107:                              ; =>This Inner Loop Header: Depth=1
	v_mov_b32_e32 v0, 1
	s_and_saveexec_b64 s[12:13], s[4:5]
	s_cbranch_execz .LBB1_104
; %bb.108:                              ;   in Loop: Header=BB1_107 Depth=1
	global_load_dword v0, v[8:9], off offset:20 glc
	s_waitcnt vmcnt(0)
	buffer_invl2
	buffer_wbinvl1_vol
	v_and_b32_e32 v0, 1, v0
	s_branch .LBB1_104
.LBB1_109:
	s_or_b64 exec, exec, s[6:7]
	s_waitcnt vmcnt(0) lgkmcnt(0)
	s_setpc_b64 s[30:31]
.LBB1_110:
	global_load_dwordx2 v[0:1], v[6:7], off
	s_and_saveexec_b64 s[12:13], s[4:5]
	s_cbranch_execz .LBB1_113
; %bb.111:
	v_mov_b32_e32 v8, 0
	global_load_dwordx2 v[6:7], v8, s[8:9] offset:40
	global_load_dwordx2 v[10:11], v8, s[8:9] offset:24 glc
	global_load_dwordx2 v[12:13], v8, s[8:9]
	v_mov_b32_e32 v3, s11
	s_mov_b64 s[4:5], 0
	s_waitcnt vmcnt(2)
	v_add_co_u32_e32 v5, vcc, 1, v6
	v_addc_co_u32_e32 v9, vcc, 0, v7, vcc
	v_add_co_u32_e32 v2, vcc, s10, v5
	v_addc_co_u32_e32 v3, vcc, v9, v3, vcc
	v_cmp_eq_u64_e32 vcc, 0, v[2:3]
	v_cndmask_b32_e32 v3, v3, v9, vcc
	v_cndmask_b32_e32 v2, v2, v5, vcc
	v_and_b32_e32 v5, v3, v7
	v_and_b32_e32 v6, v2, v6
	v_mul_lo_u32 v5, v5, 24
	v_mul_hi_u32 v7, v6, 24
	v_mul_lo_u32 v6, v6, 24
	v_add_u32_e32 v5, v7, v5
	s_waitcnt vmcnt(0)
	v_add_co_u32_e32 v6, vcc, v12, v6
	v_addc_co_u32_e32 v7, vcc, v13, v5, vcc
	v_mov_b32_e32 v4, v10
	global_store_dwordx2 v[6:7], v[10:11], off
	v_mov_b32_e32 v5, v11
	buffer_wbl2
	s_waitcnt vmcnt(0)
	global_atomic_cmpswap_x2 v[4:5], v8, v[2:5], s[8:9] offset:24 glc
	s_waitcnt vmcnt(0)
	v_cmp_ne_u64_e32 vcc, v[4:5], v[10:11]
	s_and_b64 exec, exec, vcc
	s_cbranch_execz .LBB1_113
.LBB1_112:                              ; =>This Inner Loop Header: Depth=1
	s_sleep 1
	global_store_dwordx2 v[6:7], v[4:5], off
	buffer_wbl2
	s_waitcnt vmcnt(0)
	global_atomic_cmpswap_x2 v[10:11], v8, v[2:5], s[8:9] offset:24 glc
	s_waitcnt vmcnt(0)
	v_cmp_eq_u64_e32 vcc, v[10:11], v[4:5]
	s_or_b64 s[4:5], vcc, s[4:5]
	v_pk_mov_b32 v[4:5], v[10:11], v[10:11] op_sel:[0,1]
	s_andn2_b64 exec, exec, s[4:5]
	s_cbranch_execnz .LBB1_112
.LBB1_113:
	s_or_b64 exec, exec, s[12:13]
	s_or_b64 exec, exec, s[6:7]
	s_waitcnt vmcnt(0) lgkmcnt(0)
	s_setpc_b64 s[30:31]
.Lfunc_end1:
	.size	__ockl_printf_append_string_n, .Lfunc_end1-__ockl_printf_append_string_n
                                        ; -- End function
	.section	.AMDGPU.csdata,"",@progbits
; Function info:
; codeLenInByte = 4376
; NumSgprs: 36
; NumVgprs: 38
; NumAgprs: 0
; TotalNumVgprs: 38
; ScratchSize: 0
; MemoryBound: 0
	.text
	.p2align	2                               ; -- Begin function __ockl_printf_append_args
	.type	__ockl_printf_append_args,@function
__ockl_printf_append_args:              ; @__ockl_printf_append_args
; %bb.0:
	s_waitcnt vmcnt(0) expcnt(0) lgkmcnt(0)
	s_load_dwordx2 s[6:7], s[8:9], 0x50
	v_mbcnt_lo_u32_b32 v5, -1, 0
	v_mbcnt_hi_u32_b32 v5, -1, v5
	v_readfirstlane_b32 s4, v5
	v_cmp_eq_u32_e64 s[4:5], s4, v5
	v_pk_mov_b32 v[10:11], 0, 0
	s_and_saveexec_b64 s[8:9], s[4:5]
	s_cbranch_execz .LBB2_6
; %bb.1:
	v_mov_b32_e32 v6, 0
	s_waitcnt lgkmcnt(0)
	global_load_dwordx2 v[12:13], v6, s[6:7] offset:24 glc
	s_waitcnt vmcnt(0)
	buffer_invl2
	buffer_wbinvl1_vol
	global_load_dwordx2 v[8:9], v6, s[6:7] offset:40
	global_load_dwordx2 v[10:11], v6, s[6:7]
	s_waitcnt vmcnt(1)
	v_and_b32_e32 v7, v8, v12
	v_and_b32_e32 v8, v9, v13
	v_mul_lo_u32 v8, v8, 24
	v_mul_hi_u32 v9, v7, 24
	v_mul_lo_u32 v7, v7, 24
	v_add_u32_e32 v9, v9, v8
	s_waitcnt vmcnt(0)
	v_add_co_u32_e32 v8, vcc, v10, v7
	v_addc_co_u32_e32 v9, vcc, v11, v9, vcc
	global_load_dwordx2 v[10:11], v[8:9], off glc
	s_waitcnt vmcnt(0)
	global_atomic_cmpswap_x2 v[10:11], v6, v[10:13], s[6:7] offset:24 glc
	s_waitcnt vmcnt(0)
	buffer_invl2
	buffer_wbinvl1_vol
	v_cmp_ne_u64_e32 vcc, v[10:11], v[12:13]
	s_and_saveexec_b64 s[10:11], vcc
	s_cbranch_execz .LBB2_5
; %bb.2:
	s_mov_b64 s[12:13], 0
.LBB2_3:                                ; =>This Inner Loop Header: Depth=1
	s_sleep 1
	global_load_dwordx2 v[8:9], v6, s[6:7] offset:40
	global_load_dwordx2 v[14:15], v6, s[6:7]
	v_pk_mov_b32 v[12:13], v[10:11], v[10:11] op_sel:[0,1]
	s_waitcnt vmcnt(1)
	v_and_b32_e32 v8, v8, v12
	v_and_b32_e32 v7, v9, v13
	s_waitcnt vmcnt(0)
	v_mad_u64_u32 v[8:9], s[14:15], v8, 24, v[14:15]
	v_mov_b32_e32 v10, v9
	v_mad_u64_u32 v[10:11], s[14:15], v7, 24, v[10:11]
	v_mov_b32_e32 v9, v10
	global_load_dwordx2 v[10:11], v[8:9], off glc
	s_waitcnt vmcnt(0)
	global_atomic_cmpswap_x2 v[10:11], v6, v[10:13], s[6:7] offset:24 glc
	s_waitcnt vmcnt(0)
	buffer_invl2
	buffer_wbinvl1_vol
	v_cmp_eq_u64_e32 vcc, v[10:11], v[12:13]
	s_or_b64 s[12:13], vcc, s[12:13]
	s_andn2_b64 exec, exec, s[12:13]
	s_cbranch_execnz .LBB2_3
; %bb.4:
	s_or_b64 exec, exec, s[12:13]
.LBB2_5:
	s_or_b64 exec, exec, s[10:11]
.LBB2_6:
	s_or_b64 exec, exec, s[8:9]
	v_mov_b32_e32 v14, 0
	s_waitcnt lgkmcnt(0)
	global_load_dwordx2 v[12:13], v14, s[6:7] offset:40
	global_load_dwordx4 v[6:9], v14, s[6:7]
	v_readfirstlane_b32 s8, v10
	v_readfirstlane_b32 s9, v11
	s_mov_b64 s[10:11], exec
	s_waitcnt vmcnt(1)
	v_readfirstlane_b32 s12, v12
	v_readfirstlane_b32 s13, v13
	s_and_b64 s[12:13], s[8:9], s[12:13]
	s_mul_i32 s14, s13, 24
	s_mul_hi_u32 s15, s12, 24
	s_mul_i32 s16, s12, 24
	s_add_i32 s14, s15, s14
	v_mov_b32_e32 v11, s14
	s_waitcnt vmcnt(0)
	v_add_co_u32_e32 v10, vcc, s16, v6
	v_addc_co_u32_e32 v11, vcc, v7, v11, vcc
	s_and_saveexec_b64 s[14:15], s[4:5]
	s_cbranch_execz .LBB2_8
; %bb.7:
	v_pk_mov_b32 v[12:13], s[10:11], s[10:11] op_sel:[0,1]
	v_mov_b32_e32 v14, 2
	v_mov_b32_e32 v15, 1
	global_store_dwordx4 v[10:11], v[12:15], off offset:8
.LBB2_8:
	s_or_b64 exec, exec, s[14:15]
	s_lshl_b64 s[10:11], s[12:13], 12
	v_mov_b32_e32 v12, s11
	v_add_co_u32_e32 v8, vcc, s10, v8
	v_addc_co_u32_e32 v9, vcc, v9, v12, vcc
	v_or_b32_e32 v12, 2, v0
	v_cmp_eq_u32_e32 vcc, 0, v4
	s_mov_b32 s12, 0
	v_cndmask_b32_e32 v0, v12, v0, vcc
	s_movk_i32 s10, 0xff1f
	v_and_or_b32 v0, v0, s10, 32
	v_lshlrev_b32_e32 v4, 6, v5
	v_readfirstlane_b32 s10, v8
	v_readfirstlane_b32 s11, v9
	s_mov_b32 s13, s12
	s_mov_b32 s14, s12
	;; [unrolled: 1-line block ×3, first 2 shown]
	s_nop 1
	global_store_dwordx4 v4, v[0:3], s[10:11]
	s_nop 0
	v_pk_mov_b32 v[0:1], s[12:13], s[12:13] op_sel:[0,1]
	v_pk_mov_b32 v[2:3], s[14:15], s[14:15] op_sel:[0,1]
	global_store_dwordx4 v4, v[0:3], s[10:11] offset:16
	global_store_dwordx4 v4, v[0:3], s[10:11] offset:32
	;; [unrolled: 1-line block ×3, first 2 shown]
	s_and_saveexec_b64 s[10:11], s[4:5]
	s_cbranch_execz .LBB2_16
; %bb.9:
	v_mov_b32_e32 v8, 0
	global_load_dwordx2 v[14:15], v8, s[6:7] offset:32 glc
	global_load_dwordx2 v[0:1], v8, s[6:7] offset:40
	v_mov_b32_e32 v12, s8
	v_mov_b32_e32 v13, s9
	s_waitcnt vmcnt(0)
	v_and_b32_e32 v0, s8, v0
	v_and_b32_e32 v1, s9, v1
	v_mul_lo_u32 v1, v1, 24
	v_mul_hi_u32 v2, v0, 24
	v_mul_lo_u32 v0, v0, 24
	v_add_u32_e32 v1, v2, v1
	v_add_co_u32_e32 v4, vcc, v6, v0
	v_addc_co_u32_e32 v5, vcc, v7, v1, vcc
	global_store_dwordx2 v[4:5], v[14:15], off
	buffer_wbl2
	s_waitcnt vmcnt(0)
	global_atomic_cmpswap_x2 v[2:3], v8, v[12:15], s[6:7] offset:32 glc
	s_waitcnt vmcnt(0)
	v_cmp_ne_u64_e32 vcc, v[2:3], v[14:15]
	s_and_saveexec_b64 s[12:13], vcc
	s_cbranch_execz .LBB2_12
; %bb.10:
	s_mov_b64 s[14:15], 0
.LBB2_11:                               ; =>This Inner Loop Header: Depth=1
	s_sleep 1
	global_store_dwordx2 v[4:5], v[2:3], off
	v_mov_b32_e32 v0, s8
	v_mov_b32_e32 v1, s9
	buffer_wbl2
	s_waitcnt vmcnt(0)
	global_atomic_cmpswap_x2 v[0:1], v8, v[0:3], s[6:7] offset:32 glc
	s_waitcnt vmcnt(0)
	v_cmp_eq_u64_e32 vcc, v[0:1], v[2:3]
	s_or_b64 s[14:15], vcc, s[14:15]
	v_pk_mov_b32 v[2:3], v[0:1], v[0:1] op_sel:[0,1]
	s_andn2_b64 exec, exec, s[14:15]
	s_cbranch_execnz .LBB2_11
.LBB2_12:
	s_or_b64 exec, exec, s[12:13]
	v_mov_b32_e32 v3, 0
	global_load_dwordx2 v[0:1], v3, s[6:7] offset:16
	s_mov_b64 s[12:13], exec
	v_mbcnt_lo_u32_b32 v2, s12, 0
	v_mbcnt_hi_u32_b32 v2, s13, v2
	v_cmp_eq_u32_e32 vcc, 0, v2
	s_and_saveexec_b64 s[14:15], vcc
	s_cbranch_execz .LBB2_14
; %bb.13:
	s_bcnt1_i32_b64 s12, s[12:13]
	v_mov_b32_e32 v2, s12
	buffer_wbl2
	s_waitcnt vmcnt(0)
	global_atomic_add_x2 v[0:1], v[2:3], off offset:8
.LBB2_14:
	s_or_b64 exec, exec, s[14:15]
	s_waitcnt vmcnt(0)
	global_load_dwordx2 v[2:3], v[0:1], off offset:16
	s_waitcnt vmcnt(0)
	v_cmp_eq_u64_e32 vcc, 0, v[2:3]
	s_cbranch_vccnz .LBB2_16
; %bb.15:
	global_load_dword v0, v[0:1], off offset:24
	v_mov_b32_e32 v1, 0
	buffer_wbl2
	s_waitcnt vmcnt(0)
	global_store_dwordx2 v[2:3], v[0:1], off
	v_and_b32_e32 v0, 0xffffff, v0
	v_readfirstlane_b32 m0, v0
	s_sendmsg sendmsg(MSG_INTERRUPT)
.LBB2_16:
	s_or_b64 exec, exec, s[10:11]
	s_branch .LBB2_20
.LBB2_17:                               ;   in Loop: Header=BB2_20 Depth=1
	s_or_b64 exec, exec, s[10:11]
	v_readfirstlane_b32 s10, v0
	s_cmp_eq_u32 s10, 0
	s_cbranch_scc1 .LBB2_19
; %bb.18:                               ;   in Loop: Header=BB2_20 Depth=1
	s_sleep 1
	s_cbranch_execnz .LBB2_20
	s_branch .LBB2_22
.LBB2_19:
	s_branch .LBB2_22
.LBB2_20:                               ; =>This Inner Loop Header: Depth=1
	v_mov_b32_e32 v0, 1
	s_and_saveexec_b64 s[10:11], s[4:5]
	s_cbranch_execz .LBB2_17
; %bb.21:                               ;   in Loop: Header=BB2_20 Depth=1
	global_load_dword v0, v[10:11], off offset:20 glc
	s_waitcnt vmcnt(0)
	buffer_invl2
	buffer_wbinvl1_vol
	v_and_b32_e32 v0, 1, v0
	s_branch .LBB2_17
.LBB2_22:
	s_and_saveexec_b64 s[10:11], s[4:5]
	s_cbranch_execz .LBB2_25
; %bb.23:
	v_mov_b32_e32 v6, 0
	global_load_dwordx2 v[4:5], v6, s[6:7] offset:40
	global_load_dwordx2 v[8:9], v6, s[6:7] offset:24 glc
	global_load_dwordx2 v[10:11], v6, s[6:7]
	v_mov_b32_e32 v1, s9
	s_mov_b64 s[4:5], 0
	s_waitcnt vmcnt(2)
	v_add_co_u32_e32 v3, vcc, 1, v4
	v_addc_co_u32_e32 v7, vcc, 0, v5, vcc
	v_add_co_u32_e32 v0, vcc, s8, v3
	v_addc_co_u32_e32 v1, vcc, v7, v1, vcc
	v_cmp_eq_u64_e32 vcc, 0, v[0:1]
	v_cndmask_b32_e32 v1, v1, v7, vcc
	v_cndmask_b32_e32 v0, v0, v3, vcc
	v_and_b32_e32 v3, v1, v5
	v_and_b32_e32 v4, v0, v4
	v_mul_lo_u32 v3, v3, 24
	v_mul_hi_u32 v5, v4, 24
	v_mul_lo_u32 v4, v4, 24
	v_add_u32_e32 v3, v5, v3
	s_waitcnt vmcnt(0)
	v_add_co_u32_e32 v4, vcc, v10, v4
	v_addc_co_u32_e32 v5, vcc, v11, v3, vcc
	v_mov_b32_e32 v2, v8
	global_store_dwordx2 v[4:5], v[8:9], off
	v_mov_b32_e32 v3, v9
	buffer_wbl2
	s_waitcnt vmcnt(0)
	global_atomic_cmpswap_x2 v[2:3], v6, v[0:3], s[6:7] offset:24 glc
	s_waitcnt vmcnt(0)
	v_cmp_ne_u64_e32 vcc, v[2:3], v[8:9]
	s_and_b64 exec, exec, vcc
	s_cbranch_execz .LBB2_25
.LBB2_24:                               ; =>This Inner Loop Header: Depth=1
	s_sleep 1
	global_store_dwordx2 v[4:5], v[2:3], off
	buffer_wbl2
	s_waitcnt vmcnt(0)
	global_atomic_cmpswap_x2 v[8:9], v6, v[0:3], s[6:7] offset:24 glc
	s_waitcnt vmcnt(0)
	v_cmp_eq_u64_e32 vcc, v[8:9], v[2:3]
	s_or_b64 s[4:5], vcc, s[4:5]
	v_pk_mov_b32 v[2:3], v[8:9], v[8:9] op_sel:[0,1]
	s_andn2_b64 exec, exec, s[4:5]
	s_cbranch_execnz .LBB2_24
.LBB2_25:
	s_or_b64 exec, exec, s[10:11]
	s_waitcnt vmcnt(0) lgkmcnt(0)
	s_setpc_b64 s[30:31]
.Lfunc_end2:
	.size	__ockl_printf_append_args, .Lfunc_end2-__ockl_printf_append_args
                                        ; -- End function
	.section	.AMDGPU.csdata,"",@progbits
; Function info:
; codeLenInByte = 1284
; NumSgprs: 36
; NumVgprs: 16
; NumAgprs: 0
; TotalNumVgprs: 16
; ScratchSize: 0
; MemoryBound: 0
	.text
	.p2align	2                               ; -- Begin function _ZL14no_device_codePKciS0_iS0_
	.type	_ZL14no_device_codePKciS0_iS0_,@function
_ZL14no_device_codePKciS0_iS0_:         ; @_ZL14no_device_codePKciS0_iS0_
; %bb.0:
	s_waitcnt vmcnt(0) expcnt(0) lgkmcnt(0)
	s_mov_b32 s25, s33
	s_mov_b32 s33, s32
	s_xor_saveexec_b64 s[4:5], -1
	buffer_store_dword v38, off, s[0:3], s33 ; 4-byte Folded Spill
	s_mov_b64 exec, s[4:5]
	v_writelane_b32 v38, s30, 0
	s_addk_i32 s32, 0x400
	v_writelane_b32 v38, s31, 1
	s_load_dwordx2 s[6:7], s[8:9], 0x50
	v_mbcnt_lo_u32_b32 v1, -1, 0
	v_mbcnt_hi_u32_b32 v37, -1, v1
	v_readfirstlane_b32 s4, v37
	s_mov_b64 s[26:27], s[8:9]
	v_cmp_eq_u32_e64 s[4:5], s4, v37
	v_pk_mov_b32 v[8:9], 0, 0
	s_and_saveexec_b64 s[10:11], s[4:5]
	s_cbranch_execz .LBB3_6
; %bb.1:
	v_mov_b32_e32 v1, 0
	s_waitcnt lgkmcnt(0)
	global_load_dwordx2 v[4:5], v1, s[6:7] offset:24 glc
	s_waitcnt vmcnt(0)
	buffer_invl2
	buffer_wbinvl1_vol
	global_load_dwordx2 v[2:3], v1, s[6:7] offset:40
	global_load_dwordx2 v[6:7], v1, s[6:7]
	s_waitcnt vmcnt(1)
	v_and_b32_e32 v2, v2, v4
	v_and_b32_e32 v3, v3, v5
	v_mul_lo_u32 v3, v3, 24
	v_mul_hi_u32 v8, v2, 24
	v_mul_lo_u32 v2, v2, 24
	v_add_u32_e32 v3, v8, v3
	s_waitcnt vmcnt(0)
	v_add_co_u32_e32 v2, vcc, v6, v2
	v_addc_co_u32_e32 v3, vcc, v7, v3, vcc
	global_load_dwordx2 v[2:3], v[2:3], off glc
	s_waitcnt vmcnt(0)
	global_atomic_cmpswap_x2 v[8:9], v1, v[2:5], s[6:7] offset:24 glc
	s_waitcnt vmcnt(0)
	buffer_invl2
	buffer_wbinvl1_vol
	v_cmp_ne_u64_e32 vcc, v[8:9], v[4:5]
	s_and_saveexec_b64 s[12:13], vcc
	s_cbranch_execz .LBB3_5
; %bb.2:
	s_mov_b64 s[14:15], 0
.LBB3_3:                                ; =>This Inner Loop Header: Depth=1
	s_sleep 1
	global_load_dwordx2 v[2:3], v1, s[6:7] offset:40
	global_load_dwordx2 v[6:7], v1, s[6:7]
	v_pk_mov_b32 v[4:5], v[8:9], v[8:9] op_sel:[0,1]
	s_waitcnt vmcnt(1)
	v_and_b32_e32 v2, v2, v4
	v_and_b32_e32 v8, v3, v5
	s_waitcnt vmcnt(0)
	v_mad_u64_u32 v[2:3], s[16:17], v2, 24, v[6:7]
	v_mov_b32_e32 v6, v3
	v_mad_u64_u32 v[6:7], s[16:17], v8, 24, v[6:7]
	v_mov_b32_e32 v3, v6
	global_load_dwordx2 v[2:3], v[2:3], off glc
	s_waitcnt vmcnt(0)
	global_atomic_cmpswap_x2 v[8:9], v1, v[2:5], s[6:7] offset:24 glc
	s_waitcnt vmcnt(0)
	buffer_invl2
	buffer_wbinvl1_vol
	v_cmp_eq_u64_e32 vcc, v[8:9], v[4:5]
	s_or_b64 s[14:15], vcc, s[14:15]
	s_andn2_b64 exec, exec, s[14:15]
	s_cbranch_execnz .LBB3_3
; %bb.4:
	s_or_b64 exec, exec, s[14:15]
.LBB3_5:
	s_or_b64 exec, exec, s[12:13]
.LBB3_6:
	s_or_b64 exec, exec, s[10:11]
	v_mov_b32_e32 v7, 0
	s_waitcnt lgkmcnt(0)
	global_load_dwordx2 v[10:11], v7, s[6:7] offset:40
	global_load_dwordx4 v[2:5], v7, s[6:7]
	v_readfirstlane_b32 s10, v8
	v_readfirstlane_b32 s11, v9
	s_mov_b64 s[12:13], exec
	s_waitcnt vmcnt(1)
	v_readfirstlane_b32 s14, v10
	v_readfirstlane_b32 s15, v11
	s_and_b64 s[14:15], s[10:11], s[14:15]
	s_mul_i32 s16, s15, 24
	s_mul_hi_u32 s17, s14, 24
	s_mul_i32 s18, s14, 24
	s_add_i32 s16, s17, s16
	v_mov_b32_e32 v1, s16
	s_waitcnt vmcnt(0)
	v_add_co_u32_e32 v10, vcc, s18, v2
	v_addc_co_u32_e32 v11, vcc, v3, v1, vcc
	s_and_saveexec_b64 s[16:17], s[4:5]
	s_cbranch_execz .LBB3_8
; %bb.7:
	v_pk_mov_b32 v[12:13], s[12:13], s[12:13] op_sel:[0,1]
	v_mov_b32_e32 v14, 2
	v_mov_b32_e32 v15, 1
	global_store_dwordx4 v[10:11], v[12:15], off offset:8
.LBB3_8:
	s_or_b64 exec, exec, s[16:17]
	s_lshl_b64 s[12:13], s[14:15], 12
	v_mov_b32_e32 v1, s13
	v_add_co_u32_e32 v4, vcc, s12, v4
	v_addc_co_u32_e32 v1, vcc, v5, v1, vcc
	s_mov_b32 s12, 0
	v_lshlrev_b32_e32 v36, 6, v37
	v_mov_b32_e32 v6, 33
	v_mov_b32_e32 v8, v7
	;; [unrolled: 1-line block ×3, first 2 shown]
	v_readfirstlane_b32 s16, v4
	v_readfirstlane_b32 s17, v1
	s_mov_b32 s13, s12
	v_add_co_u32_e32 v12, vcc, v4, v36
	s_mov_b32 s14, s12
	s_mov_b32 s15, s12
	s_nop 0
	global_store_dwordx4 v36, v[6:9], s[16:17]
	v_pk_mov_b32 v[4:5], s[12:13], s[12:13] op_sel:[0,1]
	v_addc_co_u32_e32 v13, vcc, 0, v1, vcc
	v_pk_mov_b32 v[6:7], s[14:15], s[14:15] op_sel:[0,1]
	global_store_dwordx4 v36, v[4:7], s[16:17] offset:16
	global_store_dwordx4 v36, v[4:7], s[16:17] offset:32
	;; [unrolled: 1-line block ×3, first 2 shown]
	s_and_saveexec_b64 s[12:13], s[4:5]
	s_cbranch_execz .LBB3_16
; %bb.9:
	v_mov_b32_e32 v1, 0
	global_load_dwordx2 v[16:17], v1, s[6:7] offset:32 glc
	global_load_dwordx2 v[4:5], v1, s[6:7] offset:40
	v_mov_b32_e32 v14, s10
	v_mov_b32_e32 v15, s11
	s_waitcnt vmcnt(0)
	v_and_b32_e32 v4, s10, v4
	v_and_b32_e32 v5, s11, v5
	v_mul_lo_u32 v5, v5, 24
	v_mul_hi_u32 v6, v4, 24
	v_mul_lo_u32 v4, v4, 24
	v_add_u32_e32 v5, v6, v5
	v_add_co_u32_e32 v6, vcc, v2, v4
	v_addc_co_u32_e32 v7, vcc, v3, v5, vcc
	global_store_dwordx2 v[6:7], v[16:17], off
	buffer_wbl2
	s_waitcnt vmcnt(0)
	global_atomic_cmpswap_x2 v[4:5], v1, v[14:17], s[6:7] offset:32 glc
	s_waitcnt vmcnt(0)
	v_cmp_ne_u64_e32 vcc, v[4:5], v[16:17]
	s_and_saveexec_b64 s[14:15], vcc
	s_cbranch_execz .LBB3_12
; %bb.10:
	s_mov_b64 s[16:17], 0
.LBB3_11:                               ; =>This Inner Loop Header: Depth=1
	s_sleep 1
	global_store_dwordx2 v[6:7], v[4:5], off
	v_mov_b32_e32 v2, s10
	v_mov_b32_e32 v3, s11
	buffer_wbl2
	s_waitcnt vmcnt(0)
	global_atomic_cmpswap_x2 v[2:3], v1, v[2:5], s[6:7] offset:32 glc
	s_waitcnt vmcnt(0)
	v_cmp_eq_u64_e32 vcc, v[2:3], v[4:5]
	s_or_b64 s[16:17], vcc, s[16:17]
	v_pk_mov_b32 v[4:5], v[2:3], v[2:3] op_sel:[0,1]
	s_andn2_b64 exec, exec, s[16:17]
	s_cbranch_execnz .LBB3_11
.LBB3_12:
	s_or_b64 exec, exec, s[14:15]
	v_mov_b32_e32 v5, 0
	global_load_dwordx2 v[2:3], v5, s[6:7] offset:16
	s_mov_b64 s[14:15], exec
	v_mbcnt_lo_u32_b32 v1, s14, 0
	v_mbcnt_hi_u32_b32 v1, s15, v1
	v_cmp_eq_u32_e32 vcc, 0, v1
	s_and_saveexec_b64 s[16:17], vcc
	s_cbranch_execz .LBB3_14
; %bb.13:
	s_bcnt1_i32_b64 s14, s[14:15]
	v_mov_b32_e32 v4, s14
	buffer_wbl2
	s_waitcnt vmcnt(0)
	global_atomic_add_x2 v[2:3], v[4:5], off offset:8
.LBB3_14:
	s_or_b64 exec, exec, s[16:17]
	s_waitcnt vmcnt(0)
	global_load_dwordx2 v[4:5], v[2:3], off offset:16
	s_waitcnt vmcnt(0)
	v_cmp_eq_u64_e32 vcc, 0, v[4:5]
	s_cbranch_vccnz .LBB3_16
; %bb.15:
	global_load_dword v2, v[2:3], off offset:24
	v_mov_b32_e32 v3, 0
	s_waitcnt vmcnt(0)
	v_and_b32_e32 v1, 0xffffff, v2
	v_readfirstlane_b32 m0, v1
	buffer_wbl2
	global_store_dwordx2 v[4:5], v[2:3], off
	s_sendmsg sendmsg(MSG_INTERRUPT)
.LBB3_16:
	s_or_b64 exec, exec, s[12:13]
	s_branch .LBB3_20
.LBB3_17:                               ;   in Loop: Header=BB3_20 Depth=1
	s_or_b64 exec, exec, s[12:13]
	v_readfirstlane_b32 s12, v1
	s_cmp_eq_u32 s12, 0
	s_cbranch_scc1 .LBB3_19
; %bb.18:                               ;   in Loop: Header=BB3_20 Depth=1
	s_sleep 1
	s_cbranch_execnz .LBB3_20
	s_branch .LBB3_22
.LBB3_19:
	s_branch .LBB3_22
.LBB3_20:                               ; =>This Inner Loop Header: Depth=1
	v_mov_b32_e32 v1, 1
	s_and_saveexec_b64 s[12:13], s[4:5]
	s_cbranch_execz .LBB3_17
; %bb.21:                               ;   in Loop: Header=BB3_20 Depth=1
	global_load_dword v1, v[10:11], off offset:20 glc
	s_waitcnt vmcnt(0)
	buffer_invl2
	buffer_wbinvl1_vol
	v_and_b32_e32 v1, 1, v1
	s_branch .LBB3_17
.LBB3_22:
	global_load_dwordx2 v[6:7], v[12:13], off
	s_and_saveexec_b64 s[12:13], s[4:5]
	s_cbranch_execz .LBB3_25
; %bb.23:
	v_mov_b32_e32 v1, 0
	global_load_dwordx2 v[8:9], v1, s[6:7] offset:40
	global_load_dwordx2 v[10:11], v1, s[6:7] offset:24 glc
	global_load_dwordx2 v[12:13], v1, s[6:7]
	v_mov_b32_e32 v3, s11
	s_mov_b64 s[4:5], 0
	s_waitcnt vmcnt(2)
	v_add_co_u32_e32 v5, vcc, 1, v8
	v_addc_co_u32_e32 v14, vcc, 0, v9, vcc
	v_add_co_u32_e32 v2, vcc, s10, v5
	v_addc_co_u32_e32 v3, vcc, v14, v3, vcc
	v_cmp_eq_u64_e32 vcc, 0, v[2:3]
	v_cndmask_b32_e32 v3, v3, v14, vcc
	v_cndmask_b32_e32 v2, v2, v5, vcc
	v_and_b32_e32 v5, v3, v9
	v_and_b32_e32 v8, v2, v8
	v_mul_lo_u32 v5, v5, 24
	v_mul_hi_u32 v9, v8, 24
	v_mul_lo_u32 v8, v8, 24
	v_add_u32_e32 v5, v9, v5
	s_waitcnt vmcnt(0)
	v_add_co_u32_e32 v8, vcc, v12, v8
	v_addc_co_u32_e32 v9, vcc, v13, v5, vcc
	v_mov_b32_e32 v4, v10
	global_store_dwordx2 v[8:9], v[10:11], off
	v_mov_b32_e32 v5, v11
	buffer_wbl2
	s_waitcnt vmcnt(0)
	global_atomic_cmpswap_x2 v[4:5], v1, v[2:5], s[6:7] offset:24 glc
	s_waitcnt vmcnt(0)
	v_cmp_ne_u64_e32 vcc, v[4:5], v[10:11]
	s_and_b64 exec, exec, vcc
	s_cbranch_execz .LBB3_25
.LBB3_24:                               ; =>This Inner Loop Header: Depth=1
	s_sleep 1
	global_store_dwordx2 v[8:9], v[4:5], off
	buffer_wbl2
	s_waitcnt vmcnt(0)
	global_atomic_cmpswap_x2 v[10:11], v1, v[2:5], s[6:7] offset:24 glc
	s_waitcnt vmcnt(0)
	v_cmp_eq_u64_e32 vcc, v[10:11], v[4:5]
	s_or_b64 s[4:5], vcc, s[4:5]
	v_pk_mov_b32 v[4:5], v[10:11], v[10:11] op_sel:[0,1]
	s_andn2_b64 exec, exec, s[4:5]
	s_cbranch_execnz .LBB3_24
.LBB3_25:
	s_or_b64 exec, exec, s[12:13]
	s_getpc_b64 s[10:11]
	s_add_u32 s10, s10, .str.3@rel32@lo+4
	s_addc_u32 s11, s11, .str.3@rel32@hi+12
	s_cmp_lg_u64 s[10:11], 0
	s_cbranch_scc0 .LBB3_109
; %bb.26:
	s_waitcnt vmcnt(0)
	v_and_b32_e32 v28, 2, v6
	v_mov_b32_e32 v31, 0
	v_and_b32_e32 v2, -3, v6
	v_mov_b32_e32 v3, v7
	s_mov_b64 s[12:13], 0x4d
	v_mov_b32_e32 v10, 2
	v_mov_b32_e32 v11, 1
	s_branch .LBB3_28
.LBB3_27:                               ;   in Loop: Header=BB3_28 Depth=1
	s_or_b64 exec, exec, s[18:19]
	s_sub_u32 s12, s12, s14
	s_subb_u32 s13, s13, s15
	s_add_u32 s10, s10, s14
	s_addc_u32 s11, s11, s15
	s_cmp_lg_u64 s[12:13], 0
	s_cbranch_scc0 .LBB3_110
.LBB3_28:                               ; =>This Loop Header: Depth=1
                                        ;     Child Loop BB3_31 Depth 2
                                        ;     Child Loop BB3_38 Depth 2
	;; [unrolled: 1-line block ×11, first 2 shown]
	v_cmp_lt_u64_e64 s[4:5], s[12:13], 56
	s_and_b64 s[4:5], s[4:5], exec
	v_cmp_gt_u64_e64 s[4:5], s[12:13], 7
	s_cselect_b32 s15, s13, 0
	s_cselect_b32 s14, s12, 56
	s_and_b64 vcc, exec, s[4:5]
	s_cbranch_vccnz .LBB3_33
; %bb.29:                               ;   in Loop: Header=BB3_28 Depth=1
	s_mov_b64 s[4:5], 0
	s_cmp_eq_u64 s[12:13], 0
	s_waitcnt vmcnt(0)
	v_pk_mov_b32 v[4:5], 0, 0
	s_cbranch_scc1 .LBB3_32
; %bb.30:                               ;   in Loop: Header=BB3_28 Depth=1
	s_lshl_b64 s[16:17], s[14:15], 3
	s_mov_b64 s[18:19], 0
	v_pk_mov_b32 v[4:5], 0, 0
	s_mov_b64 s[20:21], s[10:11]
.LBB3_31:                               ;   Parent Loop BB3_28 Depth=1
                                        ; =>  This Inner Loop Header: Depth=2
	global_load_ubyte v1, v31, s[20:21]
	s_waitcnt vmcnt(0)
	v_and_b32_e32 v30, 0xffff, v1
	v_lshlrev_b64 v[8:9], s18, v[30:31]
	s_add_u32 s18, s18, 8
	s_addc_u32 s19, s19, 0
	s_add_u32 s20, s20, 1
	s_addc_u32 s21, s21, 0
	v_or_b32_e32 v4, v8, v4
	s_cmp_lg_u32 s16, s18
	v_or_b32_e32 v5, v9, v5
	s_cbranch_scc1 .LBB3_31
.LBB3_32:                               ;   in Loop: Header=BB3_28 Depth=1
	s_mov_b32 s20, 0
	s_andn2_b64 vcc, exec, s[4:5]
	s_mov_b64 s[4:5], s[10:11]
	s_cbranch_vccz .LBB3_34
	s_branch .LBB3_35
.LBB3_33:                               ;   in Loop: Header=BB3_28 Depth=1
                                        ; implicit-def: $vgpr4_vgpr5
                                        ; implicit-def: $sgpr20
	s_mov_b64 s[4:5], s[10:11]
.LBB3_34:                               ;   in Loop: Header=BB3_28 Depth=1
	global_load_dwordx2 v[4:5], v31, s[10:11]
	s_add_i32 s20, s14, -8
	s_add_u32 s4, s10, 8
	s_addc_u32 s5, s11, 0
.LBB3_35:                               ;   in Loop: Header=BB3_28 Depth=1
	s_cmp_gt_u32 s20, 7
	s_cbranch_scc1 .LBB3_39
; %bb.36:                               ;   in Loop: Header=BB3_28 Depth=1
	s_cmp_eq_u32 s20, 0
	s_cbranch_scc1 .LBB3_40
; %bb.37:                               ;   in Loop: Header=BB3_28 Depth=1
	s_mov_b64 s[16:17], 0
	v_pk_mov_b32 v[12:13], 0, 0
	s_mov_b64 s[18:19], 0
.LBB3_38:                               ;   Parent Loop BB3_28 Depth=1
                                        ; =>  This Inner Loop Header: Depth=2
	s_add_u32 s22, s4, s18
	s_addc_u32 s23, s5, s19
	global_load_ubyte v1, v31, s[22:23]
	s_add_u32 s18, s18, 1
	s_addc_u32 s19, s19, 0
	s_waitcnt vmcnt(0)
	v_and_b32_e32 v30, 0xffff, v1
	v_lshlrev_b64 v[8:9], s16, v[30:31]
	s_add_u32 s16, s16, 8
	s_addc_u32 s17, s17, 0
	v_or_b32_e32 v12, v8, v12
	s_cmp_lg_u32 s20, s18
	v_or_b32_e32 v13, v9, v13
	s_cbranch_scc1 .LBB3_38
	s_branch .LBB3_41
.LBB3_39:                               ;   in Loop: Header=BB3_28 Depth=1
                                        ; implicit-def: $vgpr12_vgpr13
                                        ; implicit-def: $sgpr21
	s_branch .LBB3_42
.LBB3_40:                               ;   in Loop: Header=BB3_28 Depth=1
	v_pk_mov_b32 v[12:13], 0, 0
.LBB3_41:                               ;   in Loop: Header=BB3_28 Depth=1
	s_mov_b32 s21, 0
	s_cbranch_execnz .LBB3_43
.LBB3_42:                               ;   in Loop: Header=BB3_28 Depth=1
	global_load_dwordx2 v[12:13], v31, s[4:5]
	s_add_i32 s21, s20, -8
	s_add_u32 s4, s4, 8
	s_addc_u32 s5, s5, 0
.LBB3_43:                               ;   in Loop: Header=BB3_28 Depth=1
	s_cmp_gt_u32 s21, 7
	s_cbranch_scc1 .LBB3_47
; %bb.44:                               ;   in Loop: Header=BB3_28 Depth=1
	s_cmp_eq_u32 s21, 0
	s_cbranch_scc1 .LBB3_48
; %bb.45:                               ;   in Loop: Header=BB3_28 Depth=1
	s_mov_b64 s[16:17], 0
	v_pk_mov_b32 v[14:15], 0, 0
	s_mov_b64 s[18:19], 0
.LBB3_46:                               ;   Parent Loop BB3_28 Depth=1
                                        ; =>  This Inner Loop Header: Depth=2
	s_add_u32 s22, s4, s18
	s_addc_u32 s23, s5, s19
	global_load_ubyte v1, v31, s[22:23]
	s_add_u32 s18, s18, 1
	s_addc_u32 s19, s19, 0
	s_waitcnt vmcnt(0)
	v_and_b32_e32 v30, 0xffff, v1
	v_lshlrev_b64 v[8:9], s16, v[30:31]
	s_add_u32 s16, s16, 8
	s_addc_u32 s17, s17, 0
	v_or_b32_e32 v14, v8, v14
	s_cmp_lg_u32 s21, s18
	v_or_b32_e32 v15, v9, v15
	s_cbranch_scc1 .LBB3_46
	s_branch .LBB3_49
.LBB3_47:                               ;   in Loop: Header=BB3_28 Depth=1
                                        ; implicit-def: $sgpr20
	s_branch .LBB3_50
.LBB3_48:                               ;   in Loop: Header=BB3_28 Depth=1
	v_pk_mov_b32 v[14:15], 0, 0
.LBB3_49:                               ;   in Loop: Header=BB3_28 Depth=1
	s_mov_b32 s20, 0
	s_cbranch_execnz .LBB3_51
.LBB3_50:                               ;   in Loop: Header=BB3_28 Depth=1
	global_load_dwordx2 v[14:15], v31, s[4:5]
	s_add_i32 s20, s21, -8
	s_add_u32 s4, s4, 8
	s_addc_u32 s5, s5, 0
.LBB3_51:                               ;   in Loop: Header=BB3_28 Depth=1
	s_cmp_gt_u32 s20, 7
	s_cbranch_scc1 .LBB3_55
; %bb.52:                               ;   in Loop: Header=BB3_28 Depth=1
	s_cmp_eq_u32 s20, 0
	s_cbranch_scc1 .LBB3_56
; %bb.53:                               ;   in Loop: Header=BB3_28 Depth=1
	s_mov_b64 s[16:17], 0
	v_pk_mov_b32 v[16:17], 0, 0
	s_mov_b64 s[18:19], 0
.LBB3_54:                               ;   Parent Loop BB3_28 Depth=1
                                        ; =>  This Inner Loop Header: Depth=2
	s_add_u32 s22, s4, s18
	s_addc_u32 s23, s5, s19
	global_load_ubyte v1, v31, s[22:23]
	s_add_u32 s18, s18, 1
	s_addc_u32 s19, s19, 0
	s_waitcnt vmcnt(0)
	v_and_b32_e32 v30, 0xffff, v1
	v_lshlrev_b64 v[8:9], s16, v[30:31]
	s_add_u32 s16, s16, 8
	s_addc_u32 s17, s17, 0
	v_or_b32_e32 v16, v8, v16
	s_cmp_lg_u32 s20, s18
	v_or_b32_e32 v17, v9, v17
	s_cbranch_scc1 .LBB3_54
	s_branch .LBB3_57
.LBB3_55:                               ;   in Loop: Header=BB3_28 Depth=1
                                        ; implicit-def: $vgpr16_vgpr17
                                        ; implicit-def: $sgpr21
	s_branch .LBB3_58
.LBB3_56:                               ;   in Loop: Header=BB3_28 Depth=1
	v_pk_mov_b32 v[16:17], 0, 0
.LBB3_57:                               ;   in Loop: Header=BB3_28 Depth=1
	s_mov_b32 s21, 0
	s_cbranch_execnz .LBB3_59
.LBB3_58:                               ;   in Loop: Header=BB3_28 Depth=1
	global_load_dwordx2 v[16:17], v31, s[4:5]
	s_add_i32 s21, s20, -8
	s_add_u32 s4, s4, 8
	s_addc_u32 s5, s5, 0
.LBB3_59:                               ;   in Loop: Header=BB3_28 Depth=1
	s_cmp_gt_u32 s21, 7
	s_cbranch_scc1 .LBB3_63
; %bb.60:                               ;   in Loop: Header=BB3_28 Depth=1
	s_cmp_eq_u32 s21, 0
	s_cbranch_scc1 .LBB3_64
; %bb.61:                               ;   in Loop: Header=BB3_28 Depth=1
	s_mov_b64 s[16:17], 0
	v_pk_mov_b32 v[18:19], 0, 0
	s_mov_b64 s[18:19], 0
.LBB3_62:                               ;   Parent Loop BB3_28 Depth=1
                                        ; =>  This Inner Loop Header: Depth=2
	s_add_u32 s22, s4, s18
	s_addc_u32 s23, s5, s19
	global_load_ubyte v1, v31, s[22:23]
	s_add_u32 s18, s18, 1
	s_addc_u32 s19, s19, 0
	s_waitcnt vmcnt(0)
	v_and_b32_e32 v30, 0xffff, v1
	v_lshlrev_b64 v[8:9], s16, v[30:31]
	s_add_u32 s16, s16, 8
	s_addc_u32 s17, s17, 0
	v_or_b32_e32 v18, v8, v18
	s_cmp_lg_u32 s21, s18
	v_or_b32_e32 v19, v9, v19
	s_cbranch_scc1 .LBB3_62
	s_branch .LBB3_65
.LBB3_63:                               ;   in Loop: Header=BB3_28 Depth=1
                                        ; implicit-def: $sgpr20
	s_branch .LBB3_66
.LBB3_64:                               ;   in Loop: Header=BB3_28 Depth=1
	v_pk_mov_b32 v[18:19], 0, 0
.LBB3_65:                               ;   in Loop: Header=BB3_28 Depth=1
	s_mov_b32 s20, 0
	s_cbranch_execnz .LBB3_67
.LBB3_66:                               ;   in Loop: Header=BB3_28 Depth=1
	global_load_dwordx2 v[18:19], v31, s[4:5]
	s_add_i32 s20, s21, -8
	s_add_u32 s4, s4, 8
	s_addc_u32 s5, s5, 0
.LBB3_67:                               ;   in Loop: Header=BB3_28 Depth=1
	s_cmp_gt_u32 s20, 7
	s_cbranch_scc1 .LBB3_71
; %bb.68:                               ;   in Loop: Header=BB3_28 Depth=1
	s_cmp_eq_u32 s20, 0
	s_cbranch_scc1 .LBB3_72
; %bb.69:                               ;   in Loop: Header=BB3_28 Depth=1
	s_mov_b64 s[16:17], 0
	v_pk_mov_b32 v[20:21], 0, 0
	s_mov_b64 s[18:19], 0
.LBB3_70:                               ;   Parent Loop BB3_28 Depth=1
                                        ; =>  This Inner Loop Header: Depth=2
	s_add_u32 s22, s4, s18
	s_addc_u32 s23, s5, s19
	global_load_ubyte v1, v31, s[22:23]
	s_add_u32 s18, s18, 1
	s_addc_u32 s19, s19, 0
	s_waitcnt vmcnt(0)
	v_and_b32_e32 v30, 0xffff, v1
	v_lshlrev_b64 v[8:9], s16, v[30:31]
	s_add_u32 s16, s16, 8
	s_addc_u32 s17, s17, 0
	v_or_b32_e32 v20, v8, v20
	s_cmp_lg_u32 s20, s18
	v_or_b32_e32 v21, v9, v21
	s_cbranch_scc1 .LBB3_70
	s_branch .LBB3_73
.LBB3_71:                               ;   in Loop: Header=BB3_28 Depth=1
                                        ; implicit-def: $vgpr20_vgpr21
                                        ; implicit-def: $sgpr21
	s_branch .LBB3_74
.LBB3_72:                               ;   in Loop: Header=BB3_28 Depth=1
	v_pk_mov_b32 v[20:21], 0, 0
.LBB3_73:                               ;   in Loop: Header=BB3_28 Depth=1
	s_mov_b32 s21, 0
	s_cbranch_execnz .LBB3_75
.LBB3_74:                               ;   in Loop: Header=BB3_28 Depth=1
	global_load_dwordx2 v[20:21], v31, s[4:5]
	s_add_i32 s21, s20, -8
	s_add_u32 s4, s4, 8
	s_addc_u32 s5, s5, 0
.LBB3_75:                               ;   in Loop: Header=BB3_28 Depth=1
	s_cmp_gt_u32 s21, 7
	s_cbranch_scc1 .LBB3_79
; %bb.76:                               ;   in Loop: Header=BB3_28 Depth=1
	s_cmp_eq_u32 s21, 0
	s_cbranch_scc1 .LBB3_80
; %bb.77:                               ;   in Loop: Header=BB3_28 Depth=1
	s_mov_b64 s[16:17], 0
	v_pk_mov_b32 v[22:23], 0, 0
	s_mov_b64 s[18:19], s[4:5]
.LBB3_78:                               ;   Parent Loop BB3_28 Depth=1
                                        ; =>  This Inner Loop Header: Depth=2
	global_load_ubyte v1, v31, s[18:19]
	s_add_i32 s21, s21, -1
	s_waitcnt vmcnt(0)
	v_and_b32_e32 v30, 0xffff, v1
	v_lshlrev_b64 v[8:9], s16, v[30:31]
	s_add_u32 s16, s16, 8
	s_addc_u32 s17, s17, 0
	s_add_u32 s18, s18, 1
	s_addc_u32 s19, s19, 0
	v_or_b32_e32 v22, v8, v22
	s_cmp_lg_u32 s21, 0
	v_or_b32_e32 v23, v9, v23
	s_cbranch_scc1 .LBB3_78
	s_branch .LBB3_81
.LBB3_79:                               ;   in Loop: Header=BB3_28 Depth=1
	s_branch .LBB3_82
.LBB3_80:                               ;   in Loop: Header=BB3_28 Depth=1
	v_pk_mov_b32 v[22:23], 0, 0
.LBB3_81:                               ;   in Loop: Header=BB3_28 Depth=1
	s_cbranch_execnz .LBB3_83
.LBB3_82:                               ;   in Loop: Header=BB3_28 Depth=1
	global_load_dwordx2 v[22:23], v31, s[4:5]
.LBB3_83:                               ;   in Loop: Header=BB3_28 Depth=1
	v_readfirstlane_b32 s4, v37
	v_cmp_eq_u32_e64 s[4:5], s4, v37
	v_pk_mov_b32 v[8:9], 0, 0
	s_and_saveexec_b64 s[16:17], s[4:5]
	s_cbranch_execz .LBB3_89
; %bb.84:                               ;   in Loop: Header=BB3_28 Depth=1
	global_load_dwordx2 v[26:27], v31, s[6:7] offset:24 glc
	s_waitcnt vmcnt(0)
	buffer_invl2
	buffer_wbinvl1_vol
	global_load_dwordx2 v[8:9], v31, s[6:7] offset:40
	global_load_dwordx2 v[24:25], v31, s[6:7]
	s_waitcnt vmcnt(1)
	v_and_b32_e32 v1, v8, v26
	v_and_b32_e32 v8, v9, v27
	v_mul_lo_u32 v8, v8, 24
	v_mul_hi_u32 v9, v1, 24
	v_mul_lo_u32 v1, v1, 24
	v_add_u32_e32 v9, v9, v8
	s_waitcnt vmcnt(0)
	v_add_co_u32_e32 v8, vcc, v24, v1
	v_addc_co_u32_e32 v9, vcc, v25, v9, vcc
	global_load_dwordx2 v[24:25], v[8:9], off glc
	s_waitcnt vmcnt(0)
	global_atomic_cmpswap_x2 v[8:9], v31, v[24:27], s[6:7] offset:24 glc
	s_waitcnt vmcnt(0)
	buffer_invl2
	buffer_wbinvl1_vol
	v_cmp_ne_u64_e32 vcc, v[8:9], v[26:27]
	s_and_saveexec_b64 s[18:19], vcc
	s_cbranch_execz .LBB3_88
; %bb.85:                               ;   in Loop: Header=BB3_28 Depth=1
	s_mov_b64 s[20:21], 0
.LBB3_86:                               ;   Parent Loop BB3_28 Depth=1
                                        ; =>  This Inner Loop Header: Depth=2
	s_sleep 1
	global_load_dwordx2 v[24:25], v31, s[6:7] offset:40
	global_load_dwordx2 v[32:33], v31, s[6:7]
	v_pk_mov_b32 v[26:27], v[8:9], v[8:9] op_sel:[0,1]
	s_waitcnt vmcnt(1)
	v_and_b32_e32 v8, v24, v26
	s_waitcnt vmcnt(0)
	v_mad_u64_u32 v[8:9], s[22:23], v8, 24, v[32:33]
	v_and_b32_e32 v1, v25, v27
	v_mov_b32_e32 v24, v9
	v_mad_u64_u32 v[24:25], s[22:23], v1, 24, v[24:25]
	v_mov_b32_e32 v9, v24
	global_load_dwordx2 v[24:25], v[8:9], off glc
	s_waitcnt vmcnt(0)
	global_atomic_cmpswap_x2 v[8:9], v31, v[24:27], s[6:7] offset:24 glc
	s_waitcnt vmcnt(0)
	buffer_invl2
	buffer_wbinvl1_vol
	v_cmp_eq_u64_e32 vcc, v[8:9], v[26:27]
	s_or_b64 s[20:21], vcc, s[20:21]
	s_andn2_b64 exec, exec, s[20:21]
	s_cbranch_execnz .LBB3_86
; %bb.87:                               ;   in Loop: Header=BB3_28 Depth=1
	s_or_b64 exec, exec, s[20:21]
.LBB3_88:                               ;   in Loop: Header=BB3_28 Depth=1
	s_or_b64 exec, exec, s[18:19]
.LBB3_89:                               ;   in Loop: Header=BB3_28 Depth=1
	s_or_b64 exec, exec, s[16:17]
	global_load_dwordx2 v[32:33], v31, s[6:7] offset:40
	global_load_dwordx4 v[24:27], v31, s[6:7]
	v_readfirstlane_b32 s16, v8
	v_readfirstlane_b32 s17, v9
	s_mov_b64 s[18:19], exec
	s_waitcnt vmcnt(1)
	v_readfirstlane_b32 s20, v32
	v_readfirstlane_b32 s21, v33
	s_and_b64 s[20:21], s[16:17], s[20:21]
	s_mul_i32 s22, s21, 24
	s_mul_hi_u32 s23, s20, 24
	s_mul_i32 s24, s20, 24
	s_add_i32 s22, s23, s22
	v_mov_b32_e32 v1, s22
	s_waitcnt vmcnt(0)
	v_add_co_u32_e32 v32, vcc, s24, v24
	v_addc_co_u32_e32 v33, vcc, v25, v1, vcc
	s_and_saveexec_b64 s[22:23], s[4:5]
	s_cbranch_execz .LBB3_91
; %bb.90:                               ;   in Loop: Header=BB3_28 Depth=1
	v_pk_mov_b32 v[8:9], s[18:19], s[18:19] op_sel:[0,1]
	global_store_dwordx4 v[32:33], v[8:11], off offset:8
.LBB3_91:                               ;   in Loop: Header=BB3_28 Depth=1
	s_or_b64 exec, exec, s[22:23]
	s_lshl_b64 s[18:19], s[20:21], 12
	v_mov_b32_e32 v1, s19
	v_add_co_u32_e32 v8, vcc, s18, v26
	v_addc_co_u32_e32 v1, vcc, v27, v1, vcc
	v_or_b32_e32 v26, v2, v28
	v_cmp_gt_u64_e64 vcc, s[12:13], 56
	s_lshl_b32 s18, s14, 2
	v_cndmask_b32_e32 v2, v26, v2, vcc
	s_add_i32 s18, s18, 28
	v_or_b32_e32 v9, 0, v3
	s_and_b32 s18, s18, 0x1e0
	v_and_b32_e32 v2, 0xffffff1f, v2
	v_cndmask_b32_e32 v3, v9, v3, vcc
	v_or_b32_e32 v2, s18, v2
	v_readfirstlane_b32 s18, v8
	v_readfirstlane_b32 s19, v1
	s_nop 4
	global_store_dwordx4 v36, v[2:5], s[18:19]
	global_store_dwordx4 v36, v[12:15], s[18:19] offset:16
	global_store_dwordx4 v36, v[16:19], s[18:19] offset:32
	;; [unrolled: 1-line block ×3, first 2 shown]
	s_and_saveexec_b64 s[18:19], s[4:5]
	s_cbranch_execz .LBB3_99
; %bb.92:                               ;   in Loop: Header=BB3_28 Depth=1
	global_load_dwordx2 v[16:17], v31, s[6:7] offset:32 glc
	global_load_dwordx2 v[2:3], v31, s[6:7] offset:40
	v_mov_b32_e32 v14, s16
	v_mov_b32_e32 v15, s17
	s_waitcnt vmcnt(0)
	v_readfirstlane_b32 s20, v2
	v_readfirstlane_b32 s21, v3
	s_and_b64 s[20:21], s[20:21], s[16:17]
	s_mul_i32 s21, s21, 24
	s_mul_hi_u32 s22, s20, 24
	s_mul_i32 s20, s20, 24
	s_add_i32 s21, s22, s21
	v_mov_b32_e32 v2, s21
	v_add_co_u32_e32 v12, vcc, s20, v24
	v_addc_co_u32_e32 v13, vcc, v25, v2, vcc
	global_store_dwordx2 v[12:13], v[16:17], off
	buffer_wbl2
	s_waitcnt vmcnt(0)
	global_atomic_cmpswap_x2 v[4:5], v31, v[14:17], s[6:7] offset:32 glc
	s_waitcnt vmcnt(0)
	v_cmp_ne_u64_e32 vcc, v[4:5], v[16:17]
	s_and_saveexec_b64 s[20:21], vcc
	s_cbranch_execz .LBB3_95
; %bb.93:                               ;   in Loop: Header=BB3_28 Depth=1
	s_mov_b64 s[22:23], 0
.LBB3_94:                               ;   Parent Loop BB3_28 Depth=1
                                        ; =>  This Inner Loop Header: Depth=2
	s_sleep 1
	global_store_dwordx2 v[12:13], v[4:5], off
	v_mov_b32_e32 v2, s16
	v_mov_b32_e32 v3, s17
	buffer_wbl2
	s_waitcnt vmcnt(0)
	global_atomic_cmpswap_x2 v[2:3], v31, v[2:5], s[6:7] offset:32 glc
	s_waitcnt vmcnt(0)
	v_cmp_eq_u64_e32 vcc, v[2:3], v[4:5]
	s_or_b64 s[22:23], vcc, s[22:23]
	v_pk_mov_b32 v[4:5], v[2:3], v[2:3] op_sel:[0,1]
	s_andn2_b64 exec, exec, s[22:23]
	s_cbranch_execnz .LBB3_94
.LBB3_95:                               ;   in Loop: Header=BB3_28 Depth=1
	s_or_b64 exec, exec, s[20:21]
	global_load_dwordx2 v[2:3], v31, s[6:7] offset:16
	s_mov_b64 s[22:23], exec
	v_mbcnt_lo_u32_b32 v4, s22, 0
	v_mbcnt_hi_u32_b32 v4, s23, v4
	v_cmp_eq_u32_e32 vcc, 0, v4
	s_and_saveexec_b64 s[20:21], vcc
	s_cbranch_execz .LBB3_97
; %bb.96:                               ;   in Loop: Header=BB3_28 Depth=1
	s_bcnt1_i32_b64 s22, s[22:23]
	v_mov_b32_e32 v30, s22
	buffer_wbl2
	s_waitcnt vmcnt(0)
	global_atomic_add_x2 v[2:3], v[30:31], off offset:8
.LBB3_97:                               ;   in Loop: Header=BB3_28 Depth=1
	s_or_b64 exec, exec, s[20:21]
	s_waitcnt vmcnt(0)
	global_load_dwordx2 v[4:5], v[2:3], off offset:16
	s_waitcnt vmcnt(0)
	v_cmp_eq_u64_e32 vcc, 0, v[4:5]
	s_cbranch_vccnz .LBB3_99
; %bb.98:                               ;   in Loop: Header=BB3_28 Depth=1
	global_load_dword v30, v[2:3], off offset:24
	s_waitcnt vmcnt(0)
	v_and_b32_e32 v2, 0xffffff, v30
	v_readfirstlane_b32 m0, v2
	buffer_wbl2
	global_store_dwordx2 v[4:5], v[30:31], off
	s_sendmsg sendmsg(MSG_INTERRUPT)
.LBB3_99:                               ;   in Loop: Header=BB3_28 Depth=1
	s_or_b64 exec, exec, s[18:19]
	v_add_co_u32_e32 v2, vcc, v8, v36
	v_addc_co_u32_e32 v3, vcc, 0, v1, vcc
	s_branch .LBB3_103
.LBB3_100:                              ;   in Loop: Header=BB3_103 Depth=2
	s_or_b64 exec, exec, s[18:19]
	v_readfirstlane_b32 s18, v1
	s_cmp_eq_u32 s18, 0
	s_cbranch_scc1 .LBB3_102
; %bb.101:                              ;   in Loop: Header=BB3_103 Depth=2
	s_sleep 1
	s_cbranch_execnz .LBB3_103
	s_branch .LBB3_105
.LBB3_102:                              ;   in Loop: Header=BB3_28 Depth=1
	s_branch .LBB3_105
.LBB3_103:                              ;   Parent Loop BB3_28 Depth=1
                                        ; =>  This Inner Loop Header: Depth=2
	v_mov_b32_e32 v1, 1
	s_and_saveexec_b64 s[18:19], s[4:5]
	s_cbranch_execz .LBB3_100
; %bb.104:                              ;   in Loop: Header=BB3_103 Depth=2
	global_load_dword v1, v[32:33], off offset:20 glc
	s_waitcnt vmcnt(0)
	buffer_invl2
	buffer_wbinvl1_vol
	v_and_b32_e32 v1, 1, v1
	s_branch .LBB3_100
.LBB3_105:                              ;   in Loop: Header=BB3_28 Depth=1
	global_load_dwordx4 v[2:5], v[2:3], off
	s_and_saveexec_b64 s[18:19], s[4:5]
	s_cbranch_execz .LBB3_27
; %bb.106:                              ;   in Loop: Header=BB3_28 Depth=1
	global_load_dwordx2 v[4:5], v31, s[6:7] offset:40
	global_load_dwordx2 v[8:9], v31, s[6:7] offset:24 glc
	global_load_dwordx2 v[16:17], v31, s[6:7]
	v_mov_b32_e32 v1, s17
	s_waitcnt vmcnt(2)
	v_add_co_u32_e32 v15, vcc, 1, v4
	v_addc_co_u32_e32 v18, vcc, 0, v5, vcc
	v_add_co_u32_e32 v12, vcc, s16, v15
	v_addc_co_u32_e32 v13, vcc, v18, v1, vcc
	v_cmp_eq_u64_e32 vcc, 0, v[12:13]
	v_cndmask_b32_e32 v13, v13, v18, vcc
	v_cndmask_b32_e32 v12, v12, v15, vcc
	v_and_b32_e32 v1, v13, v5
	v_and_b32_e32 v4, v12, v4
	v_mul_lo_u32 v1, v1, 24
	v_mul_hi_u32 v5, v4, 24
	v_mul_lo_u32 v4, v4, 24
	v_add_u32_e32 v1, v5, v1
	s_waitcnt vmcnt(0)
	v_add_co_u32_e32 v4, vcc, v16, v4
	v_addc_co_u32_e32 v5, vcc, v17, v1, vcc
	v_mov_b32_e32 v14, v8
	global_store_dwordx2 v[4:5], v[8:9], off
	v_mov_b32_e32 v15, v9
	buffer_wbl2
	s_waitcnt vmcnt(0)
	global_atomic_cmpswap_x2 v[14:15], v31, v[12:15], s[6:7] offset:24 glc
	s_waitcnt vmcnt(0)
	v_cmp_ne_u64_e32 vcc, v[14:15], v[8:9]
	s_and_b64 exec, exec, vcc
	s_cbranch_execz .LBB3_27
; %bb.107:                              ;   in Loop: Header=BB3_28 Depth=1
	s_mov_b64 s[4:5], 0
.LBB3_108:                              ;   Parent Loop BB3_28 Depth=1
                                        ; =>  This Inner Loop Header: Depth=2
	s_sleep 1
	global_store_dwordx2 v[4:5], v[14:15], off
	buffer_wbl2
	s_waitcnt vmcnt(0)
	global_atomic_cmpswap_x2 v[8:9], v31, v[12:15], s[6:7] offset:24 glc
	s_waitcnt vmcnt(0)
	v_cmp_eq_u64_e32 vcc, v[8:9], v[14:15]
	s_or_b64 s[4:5], vcc, s[4:5]
	v_pk_mov_b32 v[14:15], v[8:9], v[8:9] op_sel:[0,1]
	s_andn2_b64 exec, exec, s[4:5]
	s_cbranch_execnz .LBB3_108
	s_branch .LBB3_27
.LBB3_109:
                                        ; implicit-def: $vgpr2_vgpr3
	s_cbranch_execnz .LBB3_111
	s_branch .LBB3_137
.LBB3_110:
	s_branch .LBB3_137
.LBB3_111:
	v_readfirstlane_b32 s4, v37
	v_cmp_eq_u32_e64 s[4:5], s4, v37
	v_pk_mov_b32 v[10:11], 0, 0
	s_and_saveexec_b64 s[10:11], s[4:5]
	s_cbranch_execz .LBB3_117
; %bb.112:
	v_mov_b32_e32 v1, 0
	global_load_dwordx2 v[4:5], v1, s[6:7] offset:24 glc
	s_waitcnt vmcnt(0)
	buffer_invl2
	buffer_wbinvl1_vol
	global_load_dwordx2 v[2:3], v1, s[6:7] offset:40
	global_load_dwordx2 v[8:9], v1, s[6:7]
	s_waitcnt vmcnt(1)
	v_and_b32_e32 v2, v2, v4
	v_and_b32_e32 v3, v3, v5
	v_mul_lo_u32 v3, v3, 24
	v_mul_hi_u32 v10, v2, 24
	v_mul_lo_u32 v2, v2, 24
	v_add_u32_e32 v3, v10, v3
	s_waitcnt vmcnt(0)
	v_add_co_u32_e32 v2, vcc, v8, v2
	v_addc_co_u32_e32 v3, vcc, v9, v3, vcc
	global_load_dwordx2 v[2:3], v[2:3], off glc
	s_waitcnt vmcnt(0)
	global_atomic_cmpswap_x2 v[10:11], v1, v[2:5], s[6:7] offset:24 glc
	s_waitcnt vmcnt(0)
	buffer_invl2
	buffer_wbinvl1_vol
	v_cmp_ne_u64_e32 vcc, v[10:11], v[4:5]
	s_and_saveexec_b64 s[12:13], vcc
	s_cbranch_execz .LBB3_116
; %bb.113:
	s_mov_b64 s[14:15], 0
.LBB3_114:                              ; =>This Inner Loop Header: Depth=1
	s_sleep 1
	global_load_dwordx2 v[2:3], v1, s[6:7] offset:40
	global_load_dwordx2 v[8:9], v1, s[6:7]
	v_pk_mov_b32 v[4:5], v[10:11], v[10:11] op_sel:[0,1]
	s_waitcnt vmcnt(1)
	v_and_b32_e32 v2, v2, v4
	v_and_b32_e32 v10, v3, v5
	s_waitcnt vmcnt(0)
	v_mad_u64_u32 v[2:3], s[16:17], v2, 24, v[8:9]
	v_mov_b32_e32 v8, v3
	v_mad_u64_u32 v[8:9], s[16:17], v10, 24, v[8:9]
	v_mov_b32_e32 v3, v8
	global_load_dwordx2 v[2:3], v[2:3], off glc
	s_waitcnt vmcnt(0)
	global_atomic_cmpswap_x2 v[10:11], v1, v[2:5], s[6:7] offset:24 glc
	s_waitcnt vmcnt(0)
	buffer_invl2
	buffer_wbinvl1_vol
	v_cmp_eq_u64_e32 vcc, v[10:11], v[4:5]
	s_or_b64 s[14:15], vcc, s[14:15]
	s_andn2_b64 exec, exec, s[14:15]
	s_cbranch_execnz .LBB3_114
; %bb.115:
	s_or_b64 exec, exec, s[14:15]
.LBB3_116:
	s_or_b64 exec, exec, s[12:13]
.LBB3_117:
	s_or_b64 exec, exec, s[10:11]
	v_mov_b32_e32 v8, 0
	global_load_dwordx2 v[12:13], v8, s[6:7] offset:40
	global_load_dwordx4 v[2:5], v8, s[6:7]
	v_readfirstlane_b32 s10, v10
	v_readfirstlane_b32 s11, v11
	s_mov_b64 s[12:13], exec
	s_waitcnt vmcnt(1)
	v_readfirstlane_b32 s14, v12
	v_readfirstlane_b32 s15, v13
	s_and_b64 s[14:15], s[10:11], s[14:15]
	s_mul_i32 s16, s15, 24
	s_mul_hi_u32 s17, s14, 24
	s_mul_i32 s18, s14, 24
	s_add_i32 s16, s17, s16
	v_mov_b32_e32 v1, s16
	s_waitcnt vmcnt(0)
	v_add_co_u32_e32 v10, vcc, s18, v2
	v_addc_co_u32_e32 v11, vcc, v3, v1, vcc
	s_and_saveexec_b64 s[16:17], s[4:5]
	s_cbranch_execz .LBB3_119
; %bb.118:
	v_pk_mov_b32 v[12:13], s[12:13], s[12:13] op_sel:[0,1]
	v_mov_b32_e32 v14, 2
	v_mov_b32_e32 v15, 1
	global_store_dwordx4 v[10:11], v[12:15], off offset:8
.LBB3_119:
	s_or_b64 exec, exec, s[16:17]
	s_lshl_b64 s[12:13], s[14:15], 12
	v_mov_b32_e32 v1, s13
	v_add_co_u32_e32 v4, vcc, s12, v4
	s_movk_i32 s12, 0xff1f
	v_addc_co_u32_e32 v1, vcc, v5, v1, vcc
	v_and_or_b32 v6, v6, s12, 32
	s_mov_b32 s12, 0
	v_mov_b32_e32 v9, v8
	v_readfirstlane_b32 s16, v4
	v_readfirstlane_b32 s17, v1
	s_mov_b32 s13, s12
	v_add_co_u32_e32 v12, vcc, v4, v36
	s_mov_b32 s14, s12
	s_mov_b32 s15, s12
	s_nop 0
	global_store_dwordx4 v36, v[6:9], s[16:17]
	v_pk_mov_b32 v[4:5], s[12:13], s[12:13] op_sel:[0,1]
	v_addc_co_u32_e32 v13, vcc, 0, v1, vcc
	v_pk_mov_b32 v[6:7], s[14:15], s[14:15] op_sel:[0,1]
	global_store_dwordx4 v36, v[4:7], s[16:17] offset:16
	global_store_dwordx4 v36, v[4:7], s[16:17] offset:32
	global_store_dwordx4 v36, v[4:7], s[16:17] offset:48
	s_and_saveexec_b64 s[12:13], s[4:5]
	s_cbranch_execz .LBB3_127
; %bb.120:
	v_mov_b32_e32 v1, 0
	global_load_dwordx2 v[16:17], v1, s[6:7] offset:32 glc
	global_load_dwordx2 v[4:5], v1, s[6:7] offset:40
	v_mov_b32_e32 v14, s10
	v_mov_b32_e32 v15, s11
	s_waitcnt vmcnt(0)
	v_readfirstlane_b32 s14, v4
	v_readfirstlane_b32 s15, v5
	s_and_b64 s[14:15], s[14:15], s[10:11]
	s_mul_i32 s15, s15, 24
	s_mul_hi_u32 s16, s14, 24
	s_mul_i32 s14, s14, 24
	s_add_i32 s15, s16, s15
	v_mov_b32_e32 v4, s15
	v_add_co_u32_e32 v6, vcc, s14, v2
	v_addc_co_u32_e32 v7, vcc, v3, v4, vcc
	global_store_dwordx2 v[6:7], v[16:17], off
	buffer_wbl2
	s_waitcnt vmcnt(0)
	global_atomic_cmpswap_x2 v[4:5], v1, v[14:17], s[6:7] offset:32 glc
	s_waitcnt vmcnt(0)
	v_cmp_ne_u64_e32 vcc, v[4:5], v[16:17]
	s_and_saveexec_b64 s[14:15], vcc
	s_cbranch_execz .LBB3_123
; %bb.121:
	s_mov_b64 s[16:17], 0
.LBB3_122:                              ; =>This Inner Loop Header: Depth=1
	s_sleep 1
	global_store_dwordx2 v[6:7], v[4:5], off
	v_mov_b32_e32 v2, s10
	v_mov_b32_e32 v3, s11
	buffer_wbl2
	s_waitcnt vmcnt(0)
	global_atomic_cmpswap_x2 v[2:3], v1, v[2:5], s[6:7] offset:32 glc
	s_waitcnt vmcnt(0)
	v_cmp_eq_u64_e32 vcc, v[2:3], v[4:5]
	s_or_b64 s[16:17], vcc, s[16:17]
	v_pk_mov_b32 v[4:5], v[2:3], v[2:3] op_sel:[0,1]
	s_andn2_b64 exec, exec, s[16:17]
	s_cbranch_execnz .LBB3_122
.LBB3_123:
	s_or_b64 exec, exec, s[14:15]
	v_mov_b32_e32 v5, 0
	global_load_dwordx2 v[2:3], v5, s[6:7] offset:16
	s_mov_b64 s[14:15], exec
	v_mbcnt_lo_u32_b32 v1, s14, 0
	v_mbcnt_hi_u32_b32 v1, s15, v1
	v_cmp_eq_u32_e32 vcc, 0, v1
	s_and_saveexec_b64 s[16:17], vcc
	s_cbranch_execz .LBB3_125
; %bb.124:
	s_bcnt1_i32_b64 s14, s[14:15]
	v_mov_b32_e32 v4, s14
	buffer_wbl2
	s_waitcnt vmcnt(0)
	global_atomic_add_x2 v[2:3], v[4:5], off offset:8
.LBB3_125:
	s_or_b64 exec, exec, s[16:17]
	s_waitcnt vmcnt(0)
	global_load_dwordx2 v[4:5], v[2:3], off offset:16
	s_waitcnt vmcnt(0)
	v_cmp_eq_u64_e32 vcc, 0, v[4:5]
	s_cbranch_vccnz .LBB3_127
; %bb.126:
	global_load_dword v2, v[2:3], off offset:24
	v_mov_b32_e32 v3, 0
	s_waitcnt vmcnt(0)
	v_and_b32_e32 v1, 0xffffff, v2
	v_readfirstlane_b32 m0, v1
	buffer_wbl2
	global_store_dwordx2 v[4:5], v[2:3], off
	s_sendmsg sendmsg(MSG_INTERRUPT)
.LBB3_127:
	s_or_b64 exec, exec, s[12:13]
	s_branch .LBB3_131
.LBB3_128:                              ;   in Loop: Header=BB3_131 Depth=1
	s_or_b64 exec, exec, s[12:13]
	v_readfirstlane_b32 s12, v1
	s_cmp_eq_u32 s12, 0
	s_cbranch_scc1 .LBB3_130
; %bb.129:                              ;   in Loop: Header=BB3_131 Depth=1
	s_sleep 1
	s_cbranch_execnz .LBB3_131
	s_branch .LBB3_133
.LBB3_130:
	s_branch .LBB3_133
.LBB3_131:                              ; =>This Inner Loop Header: Depth=1
	v_mov_b32_e32 v1, 1
	s_and_saveexec_b64 s[12:13], s[4:5]
	s_cbranch_execz .LBB3_128
; %bb.132:                              ;   in Loop: Header=BB3_131 Depth=1
	global_load_dword v1, v[10:11], off offset:20 glc
	s_waitcnt vmcnt(0)
	buffer_invl2
	buffer_wbinvl1_vol
	v_and_b32_e32 v1, 1, v1
	s_branch .LBB3_128
.LBB3_133:
	global_load_dwordx2 v[2:3], v[12:13], off
	s_and_saveexec_b64 s[12:13], s[4:5]
	s_cbranch_execz .LBB3_136
; %bb.134:
	v_mov_b32_e32 v1, 0
	global_load_dwordx2 v[8:9], v1, s[6:7] offset:40
	global_load_dwordx2 v[10:11], v1, s[6:7] offset:24 glc
	global_load_dwordx2 v[12:13], v1, s[6:7]
	v_mov_b32_e32 v5, s11
	s_mov_b64 s[4:5], 0
	s_waitcnt vmcnt(2)
	v_add_co_u32_e32 v7, vcc, 1, v8
	v_addc_co_u32_e32 v14, vcc, 0, v9, vcc
	v_add_co_u32_e32 v4, vcc, s10, v7
	v_addc_co_u32_e32 v5, vcc, v14, v5, vcc
	v_cmp_eq_u64_e32 vcc, 0, v[4:5]
	v_cndmask_b32_e32 v5, v5, v14, vcc
	v_cndmask_b32_e32 v4, v4, v7, vcc
	v_and_b32_e32 v7, v5, v9
	v_and_b32_e32 v8, v4, v8
	v_mul_lo_u32 v7, v7, 24
	v_mul_hi_u32 v9, v8, 24
	v_mul_lo_u32 v8, v8, 24
	v_add_u32_e32 v7, v9, v7
	s_waitcnt vmcnt(0)
	v_add_co_u32_e32 v8, vcc, v12, v8
	v_addc_co_u32_e32 v9, vcc, v13, v7, vcc
	v_mov_b32_e32 v6, v10
	global_store_dwordx2 v[8:9], v[10:11], off
	v_mov_b32_e32 v7, v11
	buffer_wbl2
	s_waitcnt vmcnt(0)
	global_atomic_cmpswap_x2 v[6:7], v1, v[4:7], s[6:7] offset:24 glc
	s_waitcnt vmcnt(0)
	v_cmp_ne_u64_e32 vcc, v[6:7], v[10:11]
	s_and_b64 exec, exec, vcc
	s_cbranch_execz .LBB3_136
.LBB3_135:                              ; =>This Inner Loop Header: Depth=1
	s_sleep 1
	global_store_dwordx2 v[8:9], v[6:7], off
	buffer_wbl2
	s_waitcnt vmcnt(0)
	global_atomic_cmpswap_x2 v[10:11], v1, v[4:7], s[6:7] offset:24 glc
	s_waitcnt vmcnt(0)
	v_cmp_eq_u64_e32 vcc, v[10:11], v[6:7]
	s_or_b64 s[4:5], vcc, s[4:5]
	v_pk_mov_b32 v[6:7], v[10:11], v[10:11] op_sel:[0,1]
	s_andn2_b64 exec, exec, s[4:5]
	s_cbranch_execnz .LBB3_135
.LBB3_136:
	s_or_b64 exec, exec, s[12:13]
.LBB3_137:
	s_getpc_b64 s[10:11]
	s_add_u32 s10, s10, .str.1@rel32@lo+4
	s_addc_u32 s11, s11, .str.1@rel32@hi+12
	s_cmp_lg_u64 s[10:11], 0
	s_cselect_b64 s[4:5], -1, 0
	s_cmp_eq_u64 s[10:11], 0
	s_mov_b64 s[10:11], 0
	s_cbranch_scc1 .LBB3_141
; %bb.138:
	v_mov_b32_e32 v1, 0
	s_getpc_b64 s[10:11]
	s_add_u32 s10, s10, .str.1@rel32@lo+3
	s_addc_u32 s11, s11, .str.1@rel32@hi+11
.LBB3_139:                              ; =>This Inner Loop Header: Depth=1
	global_load_ubyte v4, v1, s[10:11] offset:1
	s_add_u32 s12, s10, 1
	s_addc_u32 s13, s11, 0
	s_mov_b64 s[10:11], s[12:13]
	s_waitcnt vmcnt(0)
	v_cmp_ne_u16_e32 vcc, 0, v4
	s_cbranch_vccnz .LBB3_139
; %bb.140:
	s_getpc_b64 s[10:11]
	s_add_u32 s10, s10, .str.1@rel32@lo+4
	s_addc_u32 s11, s11, .str.1@rel32@hi+12
	s_sub_u32 s10, s12, s10
	s_subb_u32 s11, s13, s11
	s_add_u32 s10, s10, 1
	s_addc_u32 s11, s11, 0
.LBB3_141:
	s_and_b64 vcc, exec, s[4:5]
	s_cbranch_vccz .LBB3_225
; %bb.142:
	s_waitcnt vmcnt(0)
	v_and_b32_e32 v30, 2, v2
	v_mov_b32_e32 v33, 0
	v_and_b32_e32 v4, -3, v2
	v_mov_b32_e32 v5, v3
	v_mov_b32_e32 v8, 2
	;; [unrolled: 1-line block ×3, first 2 shown]
	s_getpc_b64 s[12:13]
	s_add_u32 s12, s12, .str.1@rel32@lo+4
	s_addc_u32 s13, s13, .str.1@rel32@hi+12
	s_branch .LBB3_144
.LBB3_143:                              ;   in Loop: Header=BB3_144 Depth=1
	s_or_b64 exec, exec, s[18:19]
	s_sub_u32 s10, s10, s14
	s_subb_u32 s11, s11, s15
	s_add_u32 s12, s12, s14
	s_addc_u32 s13, s13, s15
	s_cmp_lg_u64 s[10:11], 0
	s_cbranch_scc0 .LBB3_226
.LBB3_144:                              ; =>This Loop Header: Depth=1
                                        ;     Child Loop BB3_147 Depth 2
                                        ;     Child Loop BB3_154 Depth 2
	;; [unrolled: 1-line block ×11, first 2 shown]
	v_cmp_lt_u64_e64 s[4:5], s[10:11], 56
	s_and_b64 s[4:5], s[4:5], exec
	v_cmp_gt_u64_e64 s[4:5], s[10:11], 7
	s_cselect_b32 s15, s11, 0
	s_cselect_b32 s14, s10, 56
	s_and_b64 vcc, exec, s[4:5]
	s_cbranch_vccnz .LBB3_149
; %bb.145:                              ;   in Loop: Header=BB3_144 Depth=1
	s_mov_b64 s[4:5], 0
	s_cmp_eq_u64 s[10:11], 0
	v_pk_mov_b32 v[12:13], 0, 0
	s_cbranch_scc1 .LBB3_148
; %bb.146:                              ;   in Loop: Header=BB3_144 Depth=1
	s_lshl_b64 s[16:17], s[14:15], 3
	s_mov_b64 s[18:19], 0
	v_pk_mov_b32 v[12:13], 0, 0
	s_mov_b64 s[20:21], s[12:13]
.LBB3_147:                              ;   Parent Loop BB3_144 Depth=1
                                        ; =>  This Inner Loop Header: Depth=2
	global_load_ubyte v1, v33, s[20:21]
	s_waitcnt vmcnt(0)
	v_and_b32_e32 v32, 0xffff, v1
	v_lshlrev_b64 v[6:7], s18, v[32:33]
	s_add_u32 s18, s18, 8
	s_addc_u32 s19, s19, 0
	s_add_u32 s20, s20, 1
	s_addc_u32 s21, s21, 0
	v_or_b32_e32 v12, v6, v12
	s_cmp_lg_u32 s16, s18
	v_or_b32_e32 v13, v7, v13
	s_cbranch_scc1 .LBB3_147
.LBB3_148:                              ;   in Loop: Header=BB3_144 Depth=1
	s_mov_b32 s20, 0
	s_andn2_b64 vcc, exec, s[4:5]
	s_mov_b64 s[4:5], s[12:13]
	s_cbranch_vccz .LBB3_150
	s_branch .LBB3_151
.LBB3_149:                              ;   in Loop: Header=BB3_144 Depth=1
                                        ; implicit-def: $vgpr12_vgpr13
                                        ; implicit-def: $sgpr20
	s_mov_b64 s[4:5], s[12:13]
.LBB3_150:                              ;   in Loop: Header=BB3_144 Depth=1
	global_load_dwordx2 v[12:13], v33, s[12:13]
	s_add_i32 s20, s14, -8
	s_add_u32 s4, s12, 8
	s_addc_u32 s5, s13, 0
.LBB3_151:                              ;   in Loop: Header=BB3_144 Depth=1
	s_cmp_gt_u32 s20, 7
	s_cbranch_scc1 .LBB3_155
; %bb.152:                              ;   in Loop: Header=BB3_144 Depth=1
	s_cmp_eq_u32 s20, 0
	s_cbranch_scc1 .LBB3_156
; %bb.153:                              ;   in Loop: Header=BB3_144 Depth=1
	s_mov_b64 s[16:17], 0
	v_pk_mov_b32 v[14:15], 0, 0
	s_mov_b64 s[18:19], 0
.LBB3_154:                              ;   Parent Loop BB3_144 Depth=1
                                        ; =>  This Inner Loop Header: Depth=2
	s_add_u32 s22, s4, s18
	s_addc_u32 s23, s5, s19
	global_load_ubyte v1, v33, s[22:23]
	s_add_u32 s18, s18, 1
	s_addc_u32 s19, s19, 0
	s_waitcnt vmcnt(0)
	v_and_b32_e32 v32, 0xffff, v1
	v_lshlrev_b64 v[6:7], s16, v[32:33]
	s_add_u32 s16, s16, 8
	s_addc_u32 s17, s17, 0
	v_or_b32_e32 v14, v6, v14
	s_cmp_lg_u32 s20, s18
	v_or_b32_e32 v15, v7, v15
	s_cbranch_scc1 .LBB3_154
	s_branch .LBB3_157
.LBB3_155:                              ;   in Loop: Header=BB3_144 Depth=1
                                        ; implicit-def: $vgpr14_vgpr15
                                        ; implicit-def: $sgpr21
	s_branch .LBB3_158
.LBB3_156:                              ;   in Loop: Header=BB3_144 Depth=1
	v_pk_mov_b32 v[14:15], 0, 0
.LBB3_157:                              ;   in Loop: Header=BB3_144 Depth=1
	s_mov_b32 s21, 0
	s_cbranch_execnz .LBB3_159
.LBB3_158:                              ;   in Loop: Header=BB3_144 Depth=1
	global_load_dwordx2 v[14:15], v33, s[4:5]
	s_add_i32 s21, s20, -8
	s_add_u32 s4, s4, 8
	s_addc_u32 s5, s5, 0
.LBB3_159:                              ;   in Loop: Header=BB3_144 Depth=1
	s_cmp_gt_u32 s21, 7
	s_cbranch_scc1 .LBB3_163
; %bb.160:                              ;   in Loop: Header=BB3_144 Depth=1
	s_cmp_eq_u32 s21, 0
	s_cbranch_scc1 .LBB3_164
; %bb.161:                              ;   in Loop: Header=BB3_144 Depth=1
	s_mov_b64 s[16:17], 0
	v_pk_mov_b32 v[16:17], 0, 0
	s_mov_b64 s[18:19], 0
.LBB3_162:                              ;   Parent Loop BB3_144 Depth=1
                                        ; =>  This Inner Loop Header: Depth=2
	s_add_u32 s22, s4, s18
	s_addc_u32 s23, s5, s19
	global_load_ubyte v1, v33, s[22:23]
	s_add_u32 s18, s18, 1
	s_addc_u32 s19, s19, 0
	s_waitcnt vmcnt(0)
	v_and_b32_e32 v32, 0xffff, v1
	v_lshlrev_b64 v[6:7], s16, v[32:33]
	s_add_u32 s16, s16, 8
	s_addc_u32 s17, s17, 0
	v_or_b32_e32 v16, v6, v16
	s_cmp_lg_u32 s21, s18
	v_or_b32_e32 v17, v7, v17
	s_cbranch_scc1 .LBB3_162
	s_branch .LBB3_165
.LBB3_163:                              ;   in Loop: Header=BB3_144 Depth=1
                                        ; implicit-def: $sgpr20
	s_branch .LBB3_166
.LBB3_164:                              ;   in Loop: Header=BB3_144 Depth=1
	v_pk_mov_b32 v[16:17], 0, 0
.LBB3_165:                              ;   in Loop: Header=BB3_144 Depth=1
	s_mov_b32 s20, 0
	s_cbranch_execnz .LBB3_167
.LBB3_166:                              ;   in Loop: Header=BB3_144 Depth=1
	global_load_dwordx2 v[16:17], v33, s[4:5]
	s_add_i32 s20, s21, -8
	s_add_u32 s4, s4, 8
	s_addc_u32 s5, s5, 0
.LBB3_167:                              ;   in Loop: Header=BB3_144 Depth=1
	s_cmp_gt_u32 s20, 7
	s_cbranch_scc1 .LBB3_171
; %bb.168:                              ;   in Loop: Header=BB3_144 Depth=1
	s_cmp_eq_u32 s20, 0
	s_cbranch_scc1 .LBB3_172
; %bb.169:                              ;   in Loop: Header=BB3_144 Depth=1
	s_mov_b64 s[16:17], 0
	v_pk_mov_b32 v[18:19], 0, 0
	s_mov_b64 s[18:19], 0
.LBB3_170:                              ;   Parent Loop BB3_144 Depth=1
                                        ; =>  This Inner Loop Header: Depth=2
	s_add_u32 s22, s4, s18
	s_addc_u32 s23, s5, s19
	global_load_ubyte v1, v33, s[22:23]
	s_add_u32 s18, s18, 1
	s_addc_u32 s19, s19, 0
	s_waitcnt vmcnt(0)
	v_and_b32_e32 v32, 0xffff, v1
	v_lshlrev_b64 v[6:7], s16, v[32:33]
	s_add_u32 s16, s16, 8
	s_addc_u32 s17, s17, 0
	v_or_b32_e32 v18, v6, v18
	s_cmp_lg_u32 s20, s18
	v_or_b32_e32 v19, v7, v19
	s_cbranch_scc1 .LBB3_170
	s_branch .LBB3_173
.LBB3_171:                              ;   in Loop: Header=BB3_144 Depth=1
                                        ; implicit-def: $vgpr18_vgpr19
                                        ; implicit-def: $sgpr21
	s_branch .LBB3_174
.LBB3_172:                              ;   in Loop: Header=BB3_144 Depth=1
	v_pk_mov_b32 v[18:19], 0, 0
.LBB3_173:                              ;   in Loop: Header=BB3_144 Depth=1
	s_mov_b32 s21, 0
	s_cbranch_execnz .LBB3_175
.LBB3_174:                              ;   in Loop: Header=BB3_144 Depth=1
	global_load_dwordx2 v[18:19], v33, s[4:5]
	s_add_i32 s21, s20, -8
	s_add_u32 s4, s4, 8
	s_addc_u32 s5, s5, 0
.LBB3_175:                              ;   in Loop: Header=BB3_144 Depth=1
	s_cmp_gt_u32 s21, 7
	s_cbranch_scc1 .LBB3_179
; %bb.176:                              ;   in Loop: Header=BB3_144 Depth=1
	s_cmp_eq_u32 s21, 0
	s_cbranch_scc1 .LBB3_180
; %bb.177:                              ;   in Loop: Header=BB3_144 Depth=1
	s_mov_b64 s[16:17], 0
	v_pk_mov_b32 v[20:21], 0, 0
	s_mov_b64 s[18:19], 0
.LBB3_178:                              ;   Parent Loop BB3_144 Depth=1
                                        ; =>  This Inner Loop Header: Depth=2
	s_add_u32 s22, s4, s18
	s_addc_u32 s23, s5, s19
	global_load_ubyte v1, v33, s[22:23]
	s_add_u32 s18, s18, 1
	s_addc_u32 s19, s19, 0
	s_waitcnt vmcnt(0)
	v_and_b32_e32 v32, 0xffff, v1
	v_lshlrev_b64 v[6:7], s16, v[32:33]
	s_add_u32 s16, s16, 8
	s_addc_u32 s17, s17, 0
	v_or_b32_e32 v20, v6, v20
	s_cmp_lg_u32 s21, s18
	v_or_b32_e32 v21, v7, v21
	s_cbranch_scc1 .LBB3_178
	s_branch .LBB3_181
.LBB3_179:                              ;   in Loop: Header=BB3_144 Depth=1
                                        ; implicit-def: $sgpr20
	s_branch .LBB3_182
.LBB3_180:                              ;   in Loop: Header=BB3_144 Depth=1
	v_pk_mov_b32 v[20:21], 0, 0
.LBB3_181:                              ;   in Loop: Header=BB3_144 Depth=1
	s_mov_b32 s20, 0
	s_cbranch_execnz .LBB3_183
.LBB3_182:                              ;   in Loop: Header=BB3_144 Depth=1
	global_load_dwordx2 v[20:21], v33, s[4:5]
	s_add_i32 s20, s21, -8
	s_add_u32 s4, s4, 8
	s_addc_u32 s5, s5, 0
.LBB3_183:                              ;   in Loop: Header=BB3_144 Depth=1
	s_cmp_gt_u32 s20, 7
	s_cbranch_scc1 .LBB3_187
; %bb.184:                              ;   in Loop: Header=BB3_144 Depth=1
	s_cmp_eq_u32 s20, 0
	s_cbranch_scc1 .LBB3_188
; %bb.185:                              ;   in Loop: Header=BB3_144 Depth=1
	s_mov_b64 s[16:17], 0
	v_pk_mov_b32 v[22:23], 0, 0
	s_mov_b64 s[18:19], 0
.LBB3_186:                              ;   Parent Loop BB3_144 Depth=1
                                        ; =>  This Inner Loop Header: Depth=2
	s_add_u32 s22, s4, s18
	s_addc_u32 s23, s5, s19
	global_load_ubyte v1, v33, s[22:23]
	s_add_u32 s18, s18, 1
	s_addc_u32 s19, s19, 0
	s_waitcnt vmcnt(0)
	v_and_b32_e32 v32, 0xffff, v1
	v_lshlrev_b64 v[6:7], s16, v[32:33]
	s_add_u32 s16, s16, 8
	s_addc_u32 s17, s17, 0
	v_or_b32_e32 v22, v6, v22
	s_cmp_lg_u32 s20, s18
	v_or_b32_e32 v23, v7, v23
	s_cbranch_scc1 .LBB3_186
	s_branch .LBB3_189
.LBB3_187:                              ;   in Loop: Header=BB3_144 Depth=1
                                        ; implicit-def: $vgpr22_vgpr23
                                        ; implicit-def: $sgpr21
	s_branch .LBB3_190
.LBB3_188:                              ;   in Loop: Header=BB3_144 Depth=1
	v_pk_mov_b32 v[22:23], 0, 0
.LBB3_189:                              ;   in Loop: Header=BB3_144 Depth=1
	s_mov_b32 s21, 0
	s_cbranch_execnz .LBB3_191
.LBB3_190:                              ;   in Loop: Header=BB3_144 Depth=1
	global_load_dwordx2 v[22:23], v33, s[4:5]
	s_add_i32 s21, s20, -8
	s_add_u32 s4, s4, 8
	s_addc_u32 s5, s5, 0
.LBB3_191:                              ;   in Loop: Header=BB3_144 Depth=1
	s_cmp_gt_u32 s21, 7
	s_cbranch_scc1 .LBB3_195
; %bb.192:                              ;   in Loop: Header=BB3_144 Depth=1
	s_cmp_eq_u32 s21, 0
	s_cbranch_scc1 .LBB3_196
; %bb.193:                              ;   in Loop: Header=BB3_144 Depth=1
	s_mov_b64 s[16:17], 0
	v_pk_mov_b32 v[24:25], 0, 0
	s_mov_b64 s[18:19], s[4:5]
.LBB3_194:                              ;   Parent Loop BB3_144 Depth=1
                                        ; =>  This Inner Loop Header: Depth=2
	global_load_ubyte v1, v33, s[18:19]
	s_add_i32 s21, s21, -1
	s_waitcnt vmcnt(0)
	v_and_b32_e32 v32, 0xffff, v1
	v_lshlrev_b64 v[6:7], s16, v[32:33]
	s_add_u32 s16, s16, 8
	s_addc_u32 s17, s17, 0
	s_add_u32 s18, s18, 1
	s_addc_u32 s19, s19, 0
	v_or_b32_e32 v24, v6, v24
	s_cmp_lg_u32 s21, 0
	v_or_b32_e32 v25, v7, v25
	s_cbranch_scc1 .LBB3_194
	s_branch .LBB3_197
.LBB3_195:                              ;   in Loop: Header=BB3_144 Depth=1
	s_branch .LBB3_198
.LBB3_196:                              ;   in Loop: Header=BB3_144 Depth=1
	v_pk_mov_b32 v[24:25], 0, 0
.LBB3_197:                              ;   in Loop: Header=BB3_144 Depth=1
	s_cbranch_execnz .LBB3_199
.LBB3_198:                              ;   in Loop: Header=BB3_144 Depth=1
	global_load_dwordx2 v[24:25], v33, s[4:5]
.LBB3_199:                              ;   in Loop: Header=BB3_144 Depth=1
	v_readfirstlane_b32 s4, v37
	v_cmp_eq_u32_e64 s[4:5], s4, v37
	s_waitcnt vmcnt(0)
	v_pk_mov_b32 v[6:7], 0, 0
	s_and_saveexec_b64 s[16:17], s[4:5]
	s_cbranch_execz .LBB3_205
; %bb.200:                              ;   in Loop: Header=BB3_144 Depth=1
	global_load_dwordx2 v[28:29], v33, s[6:7] offset:24 glc
	s_waitcnt vmcnt(0)
	buffer_invl2
	buffer_wbinvl1_vol
	global_load_dwordx2 v[6:7], v33, s[6:7] offset:40
	global_load_dwordx2 v[10:11], v33, s[6:7]
	s_waitcnt vmcnt(1)
	v_and_b32_e32 v1, v6, v28
	v_and_b32_e32 v6, v7, v29
	v_mul_lo_u32 v6, v6, 24
	v_mul_hi_u32 v7, v1, 24
	v_mul_lo_u32 v1, v1, 24
	v_add_u32_e32 v7, v7, v6
	s_waitcnt vmcnt(0)
	v_add_co_u32_e32 v6, vcc, v10, v1
	v_addc_co_u32_e32 v7, vcc, v11, v7, vcc
	global_load_dwordx2 v[26:27], v[6:7], off glc
	s_waitcnt vmcnt(0)
	global_atomic_cmpswap_x2 v[6:7], v33, v[26:29], s[6:7] offset:24 glc
	s_waitcnt vmcnt(0)
	buffer_invl2
	buffer_wbinvl1_vol
	v_cmp_ne_u64_e32 vcc, v[6:7], v[28:29]
	s_and_saveexec_b64 s[18:19], vcc
	s_cbranch_execz .LBB3_204
; %bb.201:                              ;   in Loop: Header=BB3_144 Depth=1
	s_mov_b64 s[20:21], 0
.LBB3_202:                              ;   Parent Loop BB3_144 Depth=1
                                        ; =>  This Inner Loop Header: Depth=2
	s_sleep 1
	global_load_dwordx2 v[10:11], v33, s[6:7] offset:40
	global_load_dwordx2 v[26:27], v33, s[6:7]
	v_pk_mov_b32 v[28:29], v[6:7], v[6:7] op_sel:[0,1]
	s_waitcnt vmcnt(1)
	v_and_b32_e32 v6, v10, v28
	s_waitcnt vmcnt(0)
	v_mad_u64_u32 v[6:7], s[22:23], v6, 24, v[26:27]
	v_and_b32_e32 v1, v11, v29
	v_mov_b32_e32 v10, v7
	v_mad_u64_u32 v[10:11], s[22:23], v1, 24, v[10:11]
	v_mov_b32_e32 v7, v10
	global_load_dwordx2 v[26:27], v[6:7], off glc
	s_waitcnt vmcnt(0)
	global_atomic_cmpswap_x2 v[6:7], v33, v[26:29], s[6:7] offset:24 glc
	s_waitcnt vmcnt(0)
	buffer_invl2
	buffer_wbinvl1_vol
	v_cmp_eq_u64_e32 vcc, v[6:7], v[28:29]
	s_or_b64 s[20:21], vcc, s[20:21]
	s_andn2_b64 exec, exec, s[20:21]
	s_cbranch_execnz .LBB3_202
; %bb.203:                              ;   in Loop: Header=BB3_144 Depth=1
	s_or_b64 exec, exec, s[20:21]
.LBB3_204:                              ;   in Loop: Header=BB3_144 Depth=1
	s_or_b64 exec, exec, s[18:19]
.LBB3_205:                              ;   in Loop: Header=BB3_144 Depth=1
	s_or_b64 exec, exec, s[16:17]
	global_load_dwordx2 v[10:11], v33, s[6:7] offset:40
	global_load_dwordx4 v[26:29], v33, s[6:7]
	v_readfirstlane_b32 s16, v6
	v_readfirstlane_b32 s17, v7
	s_mov_b64 s[18:19], exec
	s_waitcnt vmcnt(1)
	v_readfirstlane_b32 s20, v10
	v_readfirstlane_b32 s21, v11
	s_and_b64 s[20:21], s[16:17], s[20:21]
	s_mul_i32 s22, s21, 24
	s_mul_hi_u32 s23, s20, 24
	s_mul_i32 s24, s20, 24
	s_add_i32 s22, s23, s22
	v_mov_b32_e32 v1, s22
	s_waitcnt vmcnt(0)
	v_add_co_u32_e32 v34, vcc, s24, v26
	v_addc_co_u32_e32 v35, vcc, v27, v1, vcc
	s_and_saveexec_b64 s[22:23], s[4:5]
	s_cbranch_execz .LBB3_207
; %bb.206:                              ;   in Loop: Header=BB3_144 Depth=1
	v_pk_mov_b32 v[6:7], s[18:19], s[18:19] op_sel:[0,1]
	global_store_dwordx4 v[34:35], v[6:9], off offset:8
.LBB3_207:                              ;   in Loop: Header=BB3_144 Depth=1
	s_or_b64 exec, exec, s[22:23]
	s_lshl_b64 s[18:19], s[20:21], 12
	v_mov_b32_e32 v1, s19
	v_add_co_u32_e32 v28, vcc, s18, v28
	v_addc_co_u32_e32 v1, vcc, v29, v1, vcc
	v_or_b32_e32 v7, v4, v30
	v_cmp_gt_u64_e64 vcc, s[10:11], 56
	s_lshl_b32 s18, s14, 2
	v_cndmask_b32_e32 v4, v7, v4, vcc
	s_add_i32 s18, s18, 28
	v_or_b32_e32 v6, 0, v5
	s_and_b32 s18, s18, 0x1e0
	v_and_b32_e32 v4, 0xffffff1f, v4
	v_cndmask_b32_e32 v11, v6, v5, vcc
	v_or_b32_e32 v10, s18, v4
	v_readfirstlane_b32 s18, v28
	v_readfirstlane_b32 s19, v1
	s_nop 4
	global_store_dwordx4 v36, v[10:13], s[18:19]
	global_store_dwordx4 v36, v[14:17], s[18:19] offset:16
	global_store_dwordx4 v36, v[18:21], s[18:19] offset:32
	;; [unrolled: 1-line block ×3, first 2 shown]
	s_and_saveexec_b64 s[18:19], s[4:5]
	s_cbranch_execz .LBB3_215
; %bb.208:                              ;   in Loop: Header=BB3_144 Depth=1
	global_load_dwordx2 v[14:15], v33, s[6:7] offset:32 glc
	global_load_dwordx2 v[4:5], v33, s[6:7] offset:40
	v_mov_b32_e32 v12, s16
	v_mov_b32_e32 v13, s17
	s_waitcnt vmcnt(0)
	v_readfirstlane_b32 s20, v4
	v_readfirstlane_b32 s21, v5
	s_and_b64 s[20:21], s[20:21], s[16:17]
	s_mul_i32 s21, s21, 24
	s_mul_hi_u32 s22, s20, 24
	s_mul_i32 s20, s20, 24
	s_add_i32 s21, s22, s21
	v_mov_b32_e32 v4, s21
	v_add_co_u32_e32 v10, vcc, s20, v26
	v_addc_co_u32_e32 v11, vcc, v27, v4, vcc
	global_store_dwordx2 v[10:11], v[14:15], off
	buffer_wbl2
	s_waitcnt vmcnt(0)
	global_atomic_cmpswap_x2 v[6:7], v33, v[12:15], s[6:7] offset:32 glc
	s_waitcnt vmcnt(0)
	v_cmp_ne_u64_e32 vcc, v[6:7], v[14:15]
	s_and_saveexec_b64 s[20:21], vcc
	s_cbranch_execz .LBB3_211
; %bb.209:                              ;   in Loop: Header=BB3_144 Depth=1
	s_mov_b64 s[22:23], 0
.LBB3_210:                              ;   Parent Loop BB3_144 Depth=1
                                        ; =>  This Inner Loop Header: Depth=2
	s_sleep 1
	global_store_dwordx2 v[10:11], v[6:7], off
	v_mov_b32_e32 v4, s16
	v_mov_b32_e32 v5, s17
	buffer_wbl2
	s_waitcnt vmcnt(0)
	global_atomic_cmpswap_x2 v[4:5], v33, v[4:7], s[6:7] offset:32 glc
	s_waitcnt vmcnt(0)
	v_cmp_eq_u64_e32 vcc, v[4:5], v[6:7]
	s_or_b64 s[22:23], vcc, s[22:23]
	v_pk_mov_b32 v[6:7], v[4:5], v[4:5] op_sel:[0,1]
	s_andn2_b64 exec, exec, s[22:23]
	s_cbranch_execnz .LBB3_210
.LBB3_211:                              ;   in Loop: Header=BB3_144 Depth=1
	s_or_b64 exec, exec, s[20:21]
	global_load_dwordx2 v[4:5], v33, s[6:7] offset:16
	s_mov_b64 s[22:23], exec
	v_mbcnt_lo_u32_b32 v6, s22, 0
	v_mbcnt_hi_u32_b32 v6, s23, v6
	v_cmp_eq_u32_e32 vcc, 0, v6
	s_and_saveexec_b64 s[20:21], vcc
	s_cbranch_execz .LBB3_213
; %bb.212:                              ;   in Loop: Header=BB3_144 Depth=1
	s_bcnt1_i32_b64 s22, s[22:23]
	v_mov_b32_e32 v32, s22
	buffer_wbl2
	s_waitcnt vmcnt(0)
	global_atomic_add_x2 v[4:5], v[32:33], off offset:8
.LBB3_213:                              ;   in Loop: Header=BB3_144 Depth=1
	s_or_b64 exec, exec, s[20:21]
	s_waitcnt vmcnt(0)
	global_load_dwordx2 v[6:7], v[4:5], off offset:16
	s_waitcnt vmcnt(0)
	v_cmp_eq_u64_e32 vcc, 0, v[6:7]
	s_cbranch_vccnz .LBB3_215
; %bb.214:                              ;   in Loop: Header=BB3_144 Depth=1
	global_load_dword v32, v[4:5], off offset:24
	s_waitcnt vmcnt(0)
	v_and_b32_e32 v4, 0xffffff, v32
	v_readfirstlane_b32 m0, v4
	buffer_wbl2
	global_store_dwordx2 v[6:7], v[32:33], off
	s_sendmsg sendmsg(MSG_INTERRUPT)
.LBB3_215:                              ;   in Loop: Header=BB3_144 Depth=1
	s_or_b64 exec, exec, s[18:19]
	v_add_co_u32_e32 v4, vcc, v28, v36
	v_addc_co_u32_e32 v5, vcc, 0, v1, vcc
	s_branch .LBB3_219
.LBB3_216:                              ;   in Loop: Header=BB3_219 Depth=2
	s_or_b64 exec, exec, s[18:19]
	v_readfirstlane_b32 s18, v1
	s_cmp_eq_u32 s18, 0
	s_cbranch_scc1 .LBB3_218
; %bb.217:                              ;   in Loop: Header=BB3_219 Depth=2
	s_sleep 1
	s_cbranch_execnz .LBB3_219
	s_branch .LBB3_221
.LBB3_218:                              ;   in Loop: Header=BB3_144 Depth=1
	s_branch .LBB3_221
.LBB3_219:                              ;   Parent Loop BB3_144 Depth=1
                                        ; =>  This Inner Loop Header: Depth=2
	v_mov_b32_e32 v1, 1
	s_and_saveexec_b64 s[18:19], s[4:5]
	s_cbranch_execz .LBB3_216
; %bb.220:                              ;   in Loop: Header=BB3_219 Depth=2
	global_load_dword v1, v[34:35], off offset:20 glc
	s_waitcnt vmcnt(0)
	buffer_invl2
	buffer_wbinvl1_vol
	v_and_b32_e32 v1, 1, v1
	s_branch .LBB3_216
.LBB3_221:                              ;   in Loop: Header=BB3_144 Depth=1
	global_load_dwordx4 v[4:7], v[4:5], off
	s_and_saveexec_b64 s[18:19], s[4:5]
	s_cbranch_execz .LBB3_143
; %bb.222:                              ;   in Loop: Header=BB3_144 Depth=1
	global_load_dwordx2 v[6:7], v33, s[6:7] offset:40
	global_load_dwordx2 v[14:15], v33, s[6:7] offset:24 glc
	global_load_dwordx2 v[16:17], v33, s[6:7]
	v_mov_b32_e32 v1, s17
	s_waitcnt vmcnt(2)
	v_add_co_u32_e32 v13, vcc, 1, v6
	v_addc_co_u32_e32 v18, vcc, 0, v7, vcc
	v_add_co_u32_e32 v10, vcc, s16, v13
	v_addc_co_u32_e32 v11, vcc, v18, v1, vcc
	v_cmp_eq_u64_e32 vcc, 0, v[10:11]
	v_cndmask_b32_e32 v11, v11, v18, vcc
	v_cndmask_b32_e32 v10, v10, v13, vcc
	v_and_b32_e32 v1, v11, v7
	v_and_b32_e32 v6, v10, v6
	v_mul_lo_u32 v1, v1, 24
	v_mul_hi_u32 v7, v6, 24
	v_mul_lo_u32 v6, v6, 24
	v_add_u32_e32 v1, v7, v1
	s_waitcnt vmcnt(0)
	v_add_co_u32_e32 v6, vcc, v16, v6
	v_addc_co_u32_e32 v7, vcc, v17, v1, vcc
	v_mov_b32_e32 v12, v14
	global_store_dwordx2 v[6:7], v[14:15], off
	v_mov_b32_e32 v13, v15
	buffer_wbl2
	s_waitcnt vmcnt(0)
	global_atomic_cmpswap_x2 v[12:13], v33, v[10:13], s[6:7] offset:24 glc
	s_waitcnt vmcnt(0)
	v_cmp_ne_u64_e32 vcc, v[12:13], v[14:15]
	s_and_b64 exec, exec, vcc
	s_cbranch_execz .LBB3_143
; %bb.223:                              ;   in Loop: Header=BB3_144 Depth=1
	s_mov_b64 s[4:5], 0
.LBB3_224:                              ;   Parent Loop BB3_144 Depth=1
                                        ; =>  This Inner Loop Header: Depth=2
	s_sleep 1
	global_store_dwordx2 v[6:7], v[12:13], off
	buffer_wbl2
	s_waitcnt vmcnt(0)
	global_atomic_cmpswap_x2 v[14:15], v33, v[10:13], s[6:7] offset:24 glc
	s_waitcnt vmcnt(0)
	v_cmp_eq_u64_e32 vcc, v[14:15], v[12:13]
	s_or_b64 s[4:5], vcc, s[4:5]
	v_pk_mov_b32 v[12:13], v[14:15], v[14:15] op_sel:[0,1]
	s_andn2_b64 exec, exec, s[4:5]
	s_cbranch_execnz .LBB3_224
	s_branch .LBB3_143
.LBB3_225:
                                        ; implicit-def: $vgpr4_vgpr5
	s_cbranch_execnz .LBB3_227
	s_branch .LBB3_253
.LBB3_226:
	s_branch .LBB3_253
.LBB3_227:
	v_readfirstlane_b32 s4, v37
	v_cmp_eq_u32_e64 s[4:5], s4, v37
	v_pk_mov_b32 v[10:11], 0, 0
	s_and_saveexec_b64 s[10:11], s[4:5]
	s_cbranch_execz .LBB3_233
; %bb.228:
	v_mov_b32_e32 v1, 0
	global_load_dwordx2 v[6:7], v1, s[6:7] offset:24 glc
	s_waitcnt vmcnt(0)
	buffer_invl2
	buffer_wbinvl1_vol
	global_load_dwordx2 v[4:5], v1, s[6:7] offset:40
	global_load_dwordx2 v[8:9], v1, s[6:7]
	s_waitcnt vmcnt(1)
	v_and_b32_e32 v4, v4, v6
	v_and_b32_e32 v5, v5, v7
	v_mul_lo_u32 v5, v5, 24
	v_mul_hi_u32 v10, v4, 24
	v_mul_lo_u32 v4, v4, 24
	v_add_u32_e32 v5, v10, v5
	s_waitcnt vmcnt(0)
	v_add_co_u32_e32 v4, vcc, v8, v4
	v_addc_co_u32_e32 v5, vcc, v9, v5, vcc
	global_load_dwordx2 v[4:5], v[4:5], off glc
	s_waitcnt vmcnt(0)
	global_atomic_cmpswap_x2 v[10:11], v1, v[4:7], s[6:7] offset:24 glc
	s_waitcnt vmcnt(0)
	buffer_invl2
	buffer_wbinvl1_vol
	v_cmp_ne_u64_e32 vcc, v[10:11], v[6:7]
	s_and_saveexec_b64 s[12:13], vcc
	s_cbranch_execz .LBB3_232
; %bb.229:
	s_mov_b64 s[14:15], 0
.LBB3_230:                              ; =>This Inner Loop Header: Depth=1
	s_sleep 1
	global_load_dwordx2 v[4:5], v1, s[6:7] offset:40
	global_load_dwordx2 v[8:9], v1, s[6:7]
	v_pk_mov_b32 v[6:7], v[10:11], v[10:11] op_sel:[0,1]
	s_waitcnt vmcnt(1)
	v_and_b32_e32 v4, v4, v6
	v_and_b32_e32 v10, v5, v7
	s_waitcnt vmcnt(0)
	v_mad_u64_u32 v[4:5], s[16:17], v4, 24, v[8:9]
	v_mov_b32_e32 v8, v5
	v_mad_u64_u32 v[8:9], s[16:17], v10, 24, v[8:9]
	v_mov_b32_e32 v5, v8
	global_load_dwordx2 v[4:5], v[4:5], off glc
	s_waitcnt vmcnt(0)
	global_atomic_cmpswap_x2 v[10:11], v1, v[4:7], s[6:7] offset:24 glc
	s_waitcnt vmcnt(0)
	buffer_invl2
	buffer_wbinvl1_vol
	v_cmp_eq_u64_e32 vcc, v[10:11], v[6:7]
	s_or_b64 s[14:15], vcc, s[14:15]
	s_andn2_b64 exec, exec, s[14:15]
	s_cbranch_execnz .LBB3_230
; %bb.231:
	s_or_b64 exec, exec, s[14:15]
.LBB3_232:
	s_or_b64 exec, exec, s[12:13]
.LBB3_233:
	s_or_b64 exec, exec, s[10:11]
	s_waitcnt vmcnt(0)
	v_mov_b32_e32 v4, 0
	global_load_dwordx2 v[12:13], v4, s[6:7] offset:40
	global_load_dwordx4 v[6:9], v4, s[6:7]
	v_readfirstlane_b32 s10, v10
	v_readfirstlane_b32 s11, v11
	s_mov_b64 s[12:13], exec
	s_waitcnt vmcnt(1)
	v_readfirstlane_b32 s14, v12
	v_readfirstlane_b32 s15, v13
	s_and_b64 s[14:15], s[10:11], s[14:15]
	s_mul_i32 s16, s15, 24
	s_mul_hi_u32 s17, s14, 24
	s_mul_i32 s18, s14, 24
	s_add_i32 s16, s17, s16
	v_mov_b32_e32 v1, s16
	s_waitcnt vmcnt(0)
	v_add_co_u32_e32 v10, vcc, s18, v6
	v_addc_co_u32_e32 v11, vcc, v7, v1, vcc
	s_and_saveexec_b64 s[16:17], s[4:5]
	s_cbranch_execz .LBB3_235
; %bb.234:
	v_pk_mov_b32 v[12:13], s[12:13], s[12:13] op_sel:[0,1]
	v_mov_b32_e32 v14, 2
	v_mov_b32_e32 v15, 1
	global_store_dwordx4 v[10:11], v[12:15], off offset:8
.LBB3_235:
	s_or_b64 exec, exec, s[16:17]
	s_lshl_b64 s[12:13], s[14:15], 12
	v_mov_b32_e32 v1, s13
	v_add_co_u32_e32 v12, vcc, s12, v8
	s_movk_i32 s12, 0xff1f
	v_addc_co_u32_e32 v1, vcc, v9, v1, vcc
	v_and_or_b32 v2, v2, s12, 32
	s_mov_b32 s12, 0
	v_mov_b32_e32 v5, v4
	v_readfirstlane_b32 s16, v12
	v_readfirstlane_b32 s17, v1
	s_mov_b32 s13, s12
	v_add_co_u32_e32 v8, vcc, v12, v36
	s_mov_b32 s14, s12
	s_mov_b32 s15, s12
	s_nop 0
	global_store_dwordx4 v36, v[2:5], s[16:17]
	v_addc_co_u32_e32 v9, vcc, 0, v1, vcc
	v_pk_mov_b32 v[2:3], s[12:13], s[12:13] op_sel:[0,1]
	v_pk_mov_b32 v[4:5], s[14:15], s[14:15] op_sel:[0,1]
	global_store_dwordx4 v36, v[2:5], s[16:17] offset:16
	global_store_dwordx4 v36, v[2:5], s[16:17] offset:32
	;; [unrolled: 1-line block ×3, first 2 shown]
	s_and_saveexec_b64 s[12:13], s[4:5]
	s_cbranch_execz .LBB3_243
; %bb.236:
	v_mov_b32_e32 v1, 0
	global_load_dwordx2 v[14:15], v1, s[6:7] offset:32 glc
	global_load_dwordx2 v[2:3], v1, s[6:7] offset:40
	v_mov_b32_e32 v12, s10
	v_mov_b32_e32 v13, s11
	s_waitcnt vmcnt(0)
	v_readfirstlane_b32 s14, v2
	v_readfirstlane_b32 s15, v3
	s_and_b64 s[14:15], s[14:15], s[10:11]
	s_mul_i32 s15, s15, 24
	s_mul_hi_u32 s16, s14, 24
	s_mul_i32 s14, s14, 24
	s_add_i32 s15, s16, s15
	v_mov_b32_e32 v2, s15
	v_add_co_u32_e32 v6, vcc, s14, v6
	v_addc_co_u32_e32 v7, vcc, v7, v2, vcc
	global_store_dwordx2 v[6:7], v[14:15], off
	buffer_wbl2
	s_waitcnt vmcnt(0)
	global_atomic_cmpswap_x2 v[4:5], v1, v[12:15], s[6:7] offset:32 glc
	s_waitcnt vmcnt(0)
	v_cmp_ne_u64_e32 vcc, v[4:5], v[14:15]
	s_and_saveexec_b64 s[14:15], vcc
	s_cbranch_execz .LBB3_239
; %bb.237:
	s_mov_b64 s[16:17], 0
.LBB3_238:                              ; =>This Inner Loop Header: Depth=1
	s_sleep 1
	global_store_dwordx2 v[6:7], v[4:5], off
	v_mov_b32_e32 v2, s10
	v_mov_b32_e32 v3, s11
	buffer_wbl2
	s_waitcnt vmcnt(0)
	global_atomic_cmpswap_x2 v[2:3], v1, v[2:5], s[6:7] offset:32 glc
	s_waitcnt vmcnt(0)
	v_cmp_eq_u64_e32 vcc, v[2:3], v[4:5]
	s_or_b64 s[16:17], vcc, s[16:17]
	v_pk_mov_b32 v[4:5], v[2:3], v[2:3] op_sel:[0,1]
	s_andn2_b64 exec, exec, s[16:17]
	s_cbranch_execnz .LBB3_238
.LBB3_239:
	s_or_b64 exec, exec, s[14:15]
	v_mov_b32_e32 v5, 0
	global_load_dwordx2 v[2:3], v5, s[6:7] offset:16
	s_mov_b64 s[14:15], exec
	v_mbcnt_lo_u32_b32 v1, s14, 0
	v_mbcnt_hi_u32_b32 v1, s15, v1
	v_cmp_eq_u32_e32 vcc, 0, v1
	s_and_saveexec_b64 s[16:17], vcc
	s_cbranch_execz .LBB3_241
; %bb.240:
	s_bcnt1_i32_b64 s14, s[14:15]
	v_mov_b32_e32 v4, s14
	buffer_wbl2
	s_waitcnt vmcnt(0)
	global_atomic_add_x2 v[2:3], v[4:5], off offset:8
.LBB3_241:
	s_or_b64 exec, exec, s[16:17]
	s_waitcnt vmcnt(0)
	global_load_dwordx2 v[4:5], v[2:3], off offset:16
	s_waitcnt vmcnt(0)
	v_cmp_eq_u64_e32 vcc, 0, v[4:5]
	s_cbranch_vccnz .LBB3_243
; %bb.242:
	global_load_dword v2, v[2:3], off offset:24
	v_mov_b32_e32 v3, 0
	s_waitcnt vmcnt(0)
	v_and_b32_e32 v1, 0xffffff, v2
	v_readfirstlane_b32 m0, v1
	buffer_wbl2
	global_store_dwordx2 v[4:5], v[2:3], off
	s_sendmsg sendmsg(MSG_INTERRUPT)
.LBB3_243:
	s_or_b64 exec, exec, s[12:13]
	s_branch .LBB3_247
.LBB3_244:                              ;   in Loop: Header=BB3_247 Depth=1
	s_or_b64 exec, exec, s[12:13]
	v_readfirstlane_b32 s12, v1
	s_cmp_eq_u32 s12, 0
	s_cbranch_scc1 .LBB3_246
; %bb.245:                              ;   in Loop: Header=BB3_247 Depth=1
	s_sleep 1
	s_cbranch_execnz .LBB3_247
	s_branch .LBB3_249
.LBB3_246:
	s_branch .LBB3_249
.LBB3_247:                              ; =>This Inner Loop Header: Depth=1
	v_mov_b32_e32 v1, 1
	s_and_saveexec_b64 s[12:13], s[4:5]
	s_cbranch_execz .LBB3_244
; %bb.248:                              ;   in Loop: Header=BB3_247 Depth=1
	global_load_dword v1, v[10:11], off offset:20 glc
	s_waitcnt vmcnt(0)
	buffer_invl2
	buffer_wbinvl1_vol
	v_and_b32_e32 v1, 1, v1
	s_branch .LBB3_244
.LBB3_249:
	global_load_dwordx2 v[4:5], v[8:9], off
	s_and_saveexec_b64 s[12:13], s[4:5]
	s_cbranch_execz .LBB3_252
; %bb.250:
	v_mov_b32_e32 v1, 0
	global_load_dwordx2 v[2:3], v1, s[6:7] offset:40
	global_load_dwordx2 v[10:11], v1, s[6:7] offset:24 glc
	global_load_dwordx2 v[12:13], v1, s[6:7]
	v_mov_b32_e32 v7, s11
	s_mov_b64 s[4:5], 0
	s_waitcnt vmcnt(2)
	v_add_co_u32_e32 v9, vcc, 1, v2
	v_addc_co_u32_e32 v14, vcc, 0, v3, vcc
	v_add_co_u32_e32 v6, vcc, s10, v9
	v_addc_co_u32_e32 v7, vcc, v14, v7, vcc
	v_cmp_eq_u64_e32 vcc, 0, v[6:7]
	v_cndmask_b32_e32 v7, v7, v14, vcc
	v_cndmask_b32_e32 v6, v6, v9, vcc
	v_and_b32_e32 v3, v7, v3
	v_and_b32_e32 v2, v6, v2
	v_mul_lo_u32 v3, v3, 24
	v_mul_hi_u32 v9, v2, 24
	v_mul_lo_u32 v2, v2, 24
	v_add_u32_e32 v3, v9, v3
	s_waitcnt vmcnt(0)
	v_add_co_u32_e32 v2, vcc, v12, v2
	v_addc_co_u32_e32 v3, vcc, v13, v3, vcc
	v_mov_b32_e32 v8, v10
	global_store_dwordx2 v[2:3], v[10:11], off
	v_mov_b32_e32 v9, v11
	buffer_wbl2
	s_waitcnt vmcnt(0)
	global_atomic_cmpswap_x2 v[8:9], v1, v[6:9], s[6:7] offset:24 glc
	s_waitcnt vmcnt(0)
	v_cmp_ne_u64_e32 vcc, v[8:9], v[10:11]
	s_and_b64 exec, exec, vcc
	s_cbranch_execz .LBB3_252
.LBB3_251:                              ; =>This Inner Loop Header: Depth=1
	s_sleep 1
	global_store_dwordx2 v[2:3], v[8:9], off
	buffer_wbl2
	s_waitcnt vmcnt(0)
	global_atomic_cmpswap_x2 v[10:11], v1, v[6:9], s[6:7] offset:24 glc
	s_waitcnt vmcnt(0)
	v_cmp_eq_u64_e32 vcc, v[10:11], v[8:9]
	s_or_b64 s[4:5], vcc, s[4:5]
	v_pk_mov_b32 v[8:9], v[10:11], v[10:11] op_sel:[0,1]
	s_andn2_b64 exec, exec, s[4:5]
	s_cbranch_execnz .LBB3_251
.LBB3_252:
	s_or_b64 exec, exec, s[12:13]
.LBB3_253:
	v_readfirstlane_b32 s4, v37
	v_cmp_eq_u32_e64 s[4:5], s4, v37
	s_waitcnt vmcnt(0)
	v_pk_mov_b32 v[2:3], 0, 0
	s_and_saveexec_b64 s[10:11], s[4:5]
	s_cbranch_execz .LBB3_259
; %bb.254:
	v_mov_b32_e32 v1, 0
	global_load_dwordx2 v[8:9], v1, s[6:7] offset:24 glc
	s_waitcnt vmcnt(0)
	buffer_invl2
	buffer_wbinvl1_vol
	global_load_dwordx2 v[2:3], v1, s[6:7] offset:40
	global_load_dwordx2 v[6:7], v1, s[6:7]
	s_waitcnt vmcnt(1)
	v_and_b32_e32 v2, v2, v8
	v_and_b32_e32 v3, v3, v9
	v_mul_lo_u32 v3, v3, 24
	v_mul_hi_u32 v10, v2, 24
	v_mul_lo_u32 v2, v2, 24
	v_add_u32_e32 v3, v10, v3
	s_waitcnt vmcnt(0)
	v_add_co_u32_e32 v2, vcc, v6, v2
	v_addc_co_u32_e32 v3, vcc, v7, v3, vcc
	global_load_dwordx2 v[6:7], v[2:3], off glc
	s_waitcnt vmcnt(0)
	global_atomic_cmpswap_x2 v[2:3], v1, v[6:9], s[6:7] offset:24 glc
	s_waitcnt vmcnt(0)
	buffer_invl2
	buffer_wbinvl1_vol
	v_cmp_ne_u64_e32 vcc, v[2:3], v[8:9]
	s_and_saveexec_b64 s[12:13], vcc
	s_cbranch_execz .LBB3_258
; %bb.255:
	s_mov_b64 s[14:15], 0
.LBB3_256:                              ; =>This Inner Loop Header: Depth=1
	s_sleep 1
	global_load_dwordx2 v[6:7], v1, s[6:7] offset:40
	global_load_dwordx2 v[10:11], v1, s[6:7]
	v_pk_mov_b32 v[8:9], v[2:3], v[2:3] op_sel:[0,1]
	s_waitcnt vmcnt(1)
	v_and_b32_e32 v2, v6, v8
	s_waitcnt vmcnt(0)
	v_mad_u64_u32 v[2:3], s[16:17], v2, 24, v[10:11]
	v_and_b32_e32 v7, v7, v9
	v_mov_b32_e32 v6, v3
	v_mad_u64_u32 v[6:7], s[16:17], v7, 24, v[6:7]
	v_mov_b32_e32 v3, v6
	global_load_dwordx2 v[6:7], v[2:3], off glc
	s_waitcnt vmcnt(0)
	global_atomic_cmpswap_x2 v[2:3], v1, v[6:9], s[6:7] offset:24 glc
	s_waitcnt vmcnt(0)
	buffer_invl2
	buffer_wbinvl1_vol
	v_cmp_eq_u64_e32 vcc, v[2:3], v[8:9]
	s_or_b64 s[14:15], vcc, s[14:15]
	s_andn2_b64 exec, exec, s[14:15]
	s_cbranch_execnz .LBB3_256
; %bb.257:
	s_or_b64 exec, exec, s[14:15]
.LBB3_258:
	s_or_b64 exec, exec, s[12:13]
.LBB3_259:
	s_or_b64 exec, exec, s[10:11]
	v_mov_b32_e32 v7, 0
	global_load_dwordx2 v[12:13], v7, s[6:7] offset:40
	global_load_dwordx4 v[8:11], v7, s[6:7]
	v_readfirstlane_b32 s10, v2
	v_readfirstlane_b32 s11, v3
	s_mov_b64 s[12:13], exec
	s_waitcnt vmcnt(1)
	v_readfirstlane_b32 s14, v12
	v_readfirstlane_b32 s15, v13
	s_and_b64 s[14:15], s[10:11], s[14:15]
	s_mul_i32 s16, s15, 24
	s_mul_hi_u32 s17, s14, 24
	s_mul_i32 s18, s14, 24
	s_add_i32 s16, s17, s16
	v_mov_b32_e32 v1, s16
	s_waitcnt vmcnt(0)
	v_add_co_u32_e32 v12, vcc, s18, v8
	v_addc_co_u32_e32 v13, vcc, v9, v1, vcc
	s_and_saveexec_b64 s[16:17], s[4:5]
	s_cbranch_execz .LBB3_261
; %bb.260:
	v_pk_mov_b32 v[14:15], s[12:13], s[12:13] op_sel:[0,1]
	v_mov_b32_e32 v16, 2
	v_mov_b32_e32 v17, 1
	global_store_dwordx4 v[12:13], v[14:17], off offset:8
.LBB3_261:
	s_or_b64 exec, exec, s[16:17]
	s_lshl_b64 s[12:13], s[14:15], 12
	v_mov_b32_e32 v1, s13
	v_add_co_u32_e32 v2, vcc, s12, v10
	v_addc_co_u32_e32 v1, vcc, v11, v1, vcc
	s_mov_b32 s12, 0
	s_movk_i32 s13, 0xff1f
	v_and_or_b32 v4, v4, s13, 32
	v_add_co_u32_e32 v10, vcc, v2, v36
	s_mov_b32 s13, s12
	v_addc_co_u32_e32 v11, vcc, 0, v1, vcc
	v_mov_b32_e32 v6, v0
	v_readfirstlane_b32 s16, v2
	v_readfirstlane_b32 s17, v1
	s_mov_b32 s14, s12
	s_mov_b32 s15, s12
	v_pk_mov_b32 v[0:1], s[12:13], s[12:13] op_sel:[0,1]
	v_pk_mov_b32 v[2:3], s[14:15], s[14:15] op_sel:[0,1]
	s_nop 0
	global_store_dwordx4 v36, v[4:7], s[16:17]
	global_store_dwordx4 v36, v[0:3], s[16:17] offset:16
	global_store_dwordx4 v36, v[0:3], s[16:17] offset:32
	;; [unrolled: 1-line block ×3, first 2 shown]
	s_and_saveexec_b64 s[12:13], s[4:5]
	s_cbranch_execz .LBB3_269
; %bb.262:
	v_mov_b32_e32 v6, 0
	global_load_dwordx2 v[16:17], v6, s[6:7] offset:32 glc
	global_load_dwordx2 v[0:1], v6, s[6:7] offset:40
	v_mov_b32_e32 v14, s10
	v_mov_b32_e32 v15, s11
	s_waitcnt vmcnt(0)
	v_readfirstlane_b32 s14, v0
	v_readfirstlane_b32 s15, v1
	s_and_b64 s[14:15], s[14:15], s[10:11]
	s_mul_i32 s15, s15, 24
	s_mul_hi_u32 s16, s14, 24
	s_mul_i32 s14, s14, 24
	s_add_i32 s15, s16, s15
	v_mov_b32_e32 v0, s15
	v_add_co_u32_e32 v4, vcc, s14, v8
	v_addc_co_u32_e32 v5, vcc, v9, v0, vcc
	global_store_dwordx2 v[4:5], v[16:17], off
	buffer_wbl2
	s_waitcnt vmcnt(0)
	global_atomic_cmpswap_x2 v[2:3], v6, v[14:17], s[6:7] offset:32 glc
	s_waitcnt vmcnt(0)
	v_cmp_ne_u64_e32 vcc, v[2:3], v[16:17]
	s_and_saveexec_b64 s[14:15], vcc
	s_cbranch_execz .LBB3_265
; %bb.263:
	s_mov_b64 s[16:17], 0
.LBB3_264:                              ; =>This Inner Loop Header: Depth=1
	s_sleep 1
	global_store_dwordx2 v[4:5], v[2:3], off
	v_mov_b32_e32 v0, s10
	v_mov_b32_e32 v1, s11
	buffer_wbl2
	s_waitcnt vmcnt(0)
	global_atomic_cmpswap_x2 v[0:1], v6, v[0:3], s[6:7] offset:32 glc
	s_waitcnt vmcnt(0)
	v_cmp_eq_u64_e32 vcc, v[0:1], v[2:3]
	s_or_b64 s[16:17], vcc, s[16:17]
	v_pk_mov_b32 v[2:3], v[0:1], v[0:1] op_sel:[0,1]
	s_andn2_b64 exec, exec, s[16:17]
	s_cbranch_execnz .LBB3_264
.LBB3_265:
	s_or_b64 exec, exec, s[14:15]
	v_mov_b32_e32 v3, 0
	global_load_dwordx2 v[0:1], v3, s[6:7] offset:16
	s_mov_b64 s[14:15], exec
	v_mbcnt_lo_u32_b32 v2, s14, 0
	v_mbcnt_hi_u32_b32 v2, s15, v2
	v_cmp_eq_u32_e32 vcc, 0, v2
	s_and_saveexec_b64 s[16:17], vcc
	s_cbranch_execz .LBB3_267
; %bb.266:
	s_bcnt1_i32_b64 s14, s[14:15]
	v_mov_b32_e32 v2, s14
	buffer_wbl2
	s_waitcnt vmcnt(0)
	global_atomic_add_x2 v[0:1], v[2:3], off offset:8
.LBB3_267:
	s_or_b64 exec, exec, s[16:17]
	s_waitcnt vmcnt(0)
	global_load_dwordx2 v[2:3], v[0:1], off offset:16
	s_waitcnt vmcnt(0)
	v_cmp_eq_u64_e32 vcc, 0, v[2:3]
	s_cbranch_vccnz .LBB3_269
; %bb.268:
	global_load_dword v0, v[0:1], off offset:24
	v_mov_b32_e32 v1, 0
	buffer_wbl2
	s_waitcnt vmcnt(0)
	global_store_dwordx2 v[2:3], v[0:1], off
	v_and_b32_e32 v0, 0xffffff, v0
	v_readfirstlane_b32 m0, v0
	s_sendmsg sendmsg(MSG_INTERRUPT)
.LBB3_269:
	s_or_b64 exec, exec, s[12:13]
	s_branch .LBB3_273
.LBB3_270:                              ;   in Loop: Header=BB3_273 Depth=1
	s_or_b64 exec, exec, s[12:13]
	v_readfirstlane_b32 s12, v0
	s_cmp_eq_u32 s12, 0
	s_cbranch_scc1 .LBB3_272
; %bb.271:                              ;   in Loop: Header=BB3_273 Depth=1
	s_sleep 1
	s_cbranch_execnz .LBB3_273
	s_branch .LBB3_275
.LBB3_272:
	s_branch .LBB3_275
.LBB3_273:                              ; =>This Inner Loop Header: Depth=1
	v_mov_b32_e32 v0, 1
	s_and_saveexec_b64 s[12:13], s[4:5]
	s_cbranch_execz .LBB3_270
; %bb.274:                              ;   in Loop: Header=BB3_273 Depth=1
	global_load_dword v0, v[12:13], off offset:20 glc
	s_waitcnt vmcnt(0)
	buffer_invl2
	buffer_wbinvl1_vol
	v_and_b32_e32 v0, 1, v0
	s_branch .LBB3_270
.LBB3_275:
	global_load_dwordx2 v[0:1], v[10:11], off
	s_and_saveexec_b64 s[12:13], s[4:5]
	s_cbranch_execz .LBB3_278
; %bb.276:
	v_mov_b32_e32 v8, 0
	global_load_dwordx2 v[6:7], v8, s[6:7] offset:40
	global_load_dwordx2 v[10:11], v8, s[6:7] offset:24 glc
	global_load_dwordx2 v[12:13], v8, s[6:7]
	v_mov_b32_e32 v3, s11
	s_mov_b64 s[4:5], 0
	s_waitcnt vmcnt(2)
	v_add_co_u32_e32 v5, vcc, 1, v6
	v_addc_co_u32_e32 v9, vcc, 0, v7, vcc
	v_add_co_u32_e32 v2, vcc, s10, v5
	v_addc_co_u32_e32 v3, vcc, v9, v3, vcc
	v_cmp_eq_u64_e32 vcc, 0, v[2:3]
	v_cndmask_b32_e32 v3, v3, v9, vcc
	v_cndmask_b32_e32 v2, v2, v5, vcc
	v_and_b32_e32 v5, v3, v7
	v_and_b32_e32 v6, v2, v6
	v_mul_lo_u32 v5, v5, 24
	v_mul_hi_u32 v7, v6, 24
	v_mul_lo_u32 v6, v6, 24
	v_add_u32_e32 v5, v7, v5
	s_waitcnt vmcnt(0)
	v_add_co_u32_e32 v6, vcc, v12, v6
	v_addc_co_u32_e32 v7, vcc, v13, v5, vcc
	v_mov_b32_e32 v4, v10
	global_store_dwordx2 v[6:7], v[10:11], off
	v_mov_b32_e32 v5, v11
	buffer_wbl2
	s_waitcnt vmcnt(0)
	global_atomic_cmpswap_x2 v[4:5], v8, v[2:5], s[6:7] offset:24 glc
	s_waitcnt vmcnt(0)
	v_cmp_ne_u64_e32 vcc, v[4:5], v[10:11]
	s_and_b64 exec, exec, vcc
	s_cbranch_execz .LBB3_278
.LBB3_277:                              ; =>This Inner Loop Header: Depth=1
	s_sleep 1
	global_store_dwordx2 v[6:7], v[4:5], off
	buffer_wbl2
	s_waitcnt vmcnt(0)
	global_atomic_cmpswap_x2 v[10:11], v8, v[2:5], s[6:7] offset:24 glc
	s_waitcnt vmcnt(0)
	v_cmp_eq_u64_e32 vcc, v[10:11], v[4:5]
	s_or_b64 s[4:5], vcc, s[4:5]
	v_pk_mov_b32 v[4:5], v[10:11], v[10:11] op_sel:[0,1]
	s_andn2_b64 exec, exec, s[4:5]
	s_cbranch_execnz .LBB3_277
.LBB3_278:
	s_or_b64 exec, exec, s[12:13]
	s_getpc_b64 s[4:5]
	s_add_u32 s4, s4, __FUNCTION__._ZL18flash_attn_ext_f16ILi192ELi128ELi2ELi16ELb1ELb0EEvPKcS1_S1_S1_S1_PKiPfP15HIP_vector_typeIfLj2EEffffjfiS5_IjLj3EEiiiiiiiiiiiliiliiiiil@rel32@lo+4
	s_addc_u32 s5, s5, __FUNCTION__._ZL18flash_attn_ext_f16ILi192ELi128ELi2ELi16ELb1ELb0EEvPKcS1_S1_S1_S1_PKiPfP15HIP_vector_typeIfLj2EEffffjfiS5_IjLj3EEiiiiiiiiiiiliiliiiiil@rel32@hi+12
	s_cmp_lg_u64 s[4:5], 0
	s_cselect_b32 s10, 19, 0
	s_mov_b64 s[8:9], s[26:27]
	v_mov_b32_e32 v2, s4
	v_mov_b32_e32 v3, s5
	;; [unrolled: 1-line block ×4, first 2 shown]
	s_getpc_b64 s[6:7]
	s_add_u32 s6, s6, __ockl_printf_append_string_n@rel32@lo+4
	s_addc_u32 s7, s7, __ockl_printf_append_string_n@rel32@hi+12
	s_swappc_b64 s[30:31], s[6:7]
	s_mov_b64 s[8:9], s[26:27]
	v_mov_b32_e32 v2, 0x514
	v_mov_b32_e32 v3, 0
	;; [unrolled: 1-line block ×3, first 2 shown]
	s_getpc_b64 s[4:5]
	s_add_u32 s4, s4, __ockl_printf_append_args@rel32@lo+4
	s_addc_u32 s5, s5, __ockl_printf_append_args@rel32@hi+12
	s_swappc_b64 s[30:31], s[4:5]
	s_trap 2
.Lfunc_end3:
	.size	_ZL14no_device_codePKciS0_iS0_, .Lfunc_end3-_ZL14no_device_codePKciS0_iS0_
                                        ; -- End function
	.section	.AMDGPU.csdata,"",@progbits
; Function info:
; codeLenInByte = 9972
; NumSgprs: 38
; NumVgprs: 39
; NumAgprs: 0
; TotalNumVgprs: 39
; ScratchSize: 16
; MemoryBound: 0
	.section	.text._ZL18flash_attn_ext_f16ILi192ELi128ELi2ELi16ELb1ELb0EEvPKcS1_S1_S1_S1_PKiPfP15HIP_vector_typeIfLj2EEffffjfiS5_IjLj3EEiiiiiiiiiiiliiliiiiil,"axG",@progbits,_ZL18flash_attn_ext_f16ILi192ELi128ELi2ELi16ELb1ELb0EEvPKcS1_S1_S1_S1_PKiPfP15HIP_vector_typeIfLj2EEffffjfiS5_IjLj3EEiiiiiiiiiiiliiliiiiil,comdat
	.globl	_ZL18flash_attn_ext_f16ILi192ELi128ELi2ELi16ELb1ELb0EEvPKcS1_S1_S1_S1_PKiPfP15HIP_vector_typeIfLj2EEffffjfiS5_IjLj3EEiiiiiiiiiiiliiliiiiil ; -- Begin function _ZL18flash_attn_ext_f16ILi192ELi128ELi2ELi16ELb1ELb0EEvPKcS1_S1_S1_S1_PKiPfP15HIP_vector_typeIfLj2EEffffjfiS5_IjLj3EEiiiiiiiiiiiliiliiiiil
	.p2align	8
	.type	_ZL18flash_attn_ext_f16ILi192ELi128ELi2ELi16ELb1ELb0EEvPKcS1_S1_S1_S1_PKiPfP15HIP_vector_typeIfLj2EEffffjfiS5_IjLj3EEiiiiiiiiiiiliiliiiiil,@function
_ZL18flash_attn_ext_f16ILi192ELi128ELi2ELi16ELb1ELb0EEvPKcS1_S1_S1_S1_PKiPfP15HIP_vector_typeIfLj2EEffffjfiS5_IjLj3EEiiiiiiiiiiiliiliiiiil: ; @_ZL18flash_attn_ext_f16ILi192ELi128ELi2ELi16ELb1ELb0EEvPKcS1_S1_S1_S1_PKiPfP15HIP_vector_typeIfLj2EEffffjfiS5_IjLj3EEiiiiiiiiiiiliiliiiiil
; %bb.0:
	s_add_u32 flat_scratch_lo, s6, s9
	s_addc_u32 flat_scratch_hi, s7, 0
	s_add_u32 s0, s0, s9
	s_addc_u32 s1, s1, 0
	s_add_u32 s8, s4, 0xd0
	s_addc_u32 s9, s5, 0
	v_mov_b32_e32 v0, 0x6cc
	s_mov_b32 s32, 0
	s_getpc_b64 s[4:5]
	s_add_u32 s4, s4, _ZL14no_device_codePKciS0_iS0_@rel32@lo+4
	s_addc_u32 s5, s5, _ZL14no_device_codePKciS0_iS0_@rel32@hi+12
	s_swappc_b64 s[30:31], s[4:5]
	.section	.rodata,"a",@progbits
	.p2align	6, 0x0
	.amdhsa_kernel _ZL18flash_attn_ext_f16ILi192ELi128ELi2ELi16ELb1ELb0EEvPKcS1_S1_S1_S1_PKiPfP15HIP_vector_typeIfLj2EEffffjfiS5_IjLj3EEiiiiiiiiiiiliiliiiiil
		.amdhsa_group_segment_fixed_size 0
		.amdhsa_private_segment_fixed_size 16
		.amdhsa_kernarg_size 464
		.amdhsa_user_sgpr_count 8
		.amdhsa_user_sgpr_private_segment_buffer 1
		.amdhsa_user_sgpr_dispatch_ptr 0
		.amdhsa_user_sgpr_queue_ptr 0
		.amdhsa_user_sgpr_kernarg_segment_ptr 1
		.amdhsa_user_sgpr_dispatch_id 0
		.amdhsa_user_sgpr_flat_scratch_init 1
		.amdhsa_user_sgpr_kernarg_preload_length 0
		.amdhsa_user_sgpr_kernarg_preload_offset 0
		.amdhsa_user_sgpr_private_segment_size 0
		.amdhsa_uses_dynamic_stack 0
		.amdhsa_system_sgpr_private_segment_wavefront_offset 1
		.amdhsa_system_sgpr_workgroup_id_x 1
		.amdhsa_system_sgpr_workgroup_id_y 0
		.amdhsa_system_sgpr_workgroup_id_z 0
		.amdhsa_system_sgpr_workgroup_info 0
		.amdhsa_system_vgpr_workitem_id 0
		.amdhsa_next_free_vgpr 39
		.amdhsa_next_free_sgpr 34
		.amdhsa_accum_offset 40
		.amdhsa_reserve_vcc 1
		.amdhsa_reserve_flat_scratch 1
		.amdhsa_float_round_mode_32 0
		.amdhsa_float_round_mode_16_64 0
		.amdhsa_float_denorm_mode_32 3
		.amdhsa_float_denorm_mode_16_64 3
		.amdhsa_dx10_clamp 1
		.amdhsa_ieee_mode 1
		.amdhsa_fp16_overflow 0
		.amdhsa_tg_split 0
		.amdhsa_exception_fp_ieee_invalid_op 0
		.amdhsa_exception_fp_denorm_src 0
		.amdhsa_exception_fp_ieee_div_zero 0
		.amdhsa_exception_fp_ieee_overflow 0
		.amdhsa_exception_fp_ieee_underflow 0
		.amdhsa_exception_fp_ieee_inexact 0
		.amdhsa_exception_int_div_zero 0
	.end_amdhsa_kernel
	.section	.text._ZL18flash_attn_ext_f16ILi192ELi128ELi2ELi16ELb1ELb0EEvPKcS1_S1_S1_S1_PKiPfP15HIP_vector_typeIfLj2EEffffjfiS5_IjLj3EEiiiiiiiiiiiliiliiiiil,"axG",@progbits,_ZL18flash_attn_ext_f16ILi192ELi128ELi2ELi16ELb1ELb0EEvPKcS1_S1_S1_S1_PKiPfP15HIP_vector_typeIfLj2EEffffjfiS5_IjLj3EEiiiiiiiiiiiliiliiiiil,comdat
.Lfunc_end4:
	.size	_ZL18flash_attn_ext_f16ILi192ELi128ELi2ELi16ELb1ELb0EEvPKcS1_S1_S1_S1_PKiPfP15HIP_vector_typeIfLj2EEffffjfiS5_IjLj3EEiiiiiiiiiiiliiliiiiil, .Lfunc_end4-_ZL18flash_attn_ext_f16ILi192ELi128ELi2ELi16ELb1ELb0EEvPKcS1_S1_S1_S1_PKiPfP15HIP_vector_typeIfLj2EEffffjfiS5_IjLj3EEiiiiiiiiiiiliiliiiiil
                                        ; -- End function
	.section	.AMDGPU.csdata,"",@progbits
; Kernel info:
; codeLenInByte = 64
; NumSgprs: 40
; NumVgprs: 39
; NumAgprs: 0
; TotalNumVgprs: 39
; ScratchSize: 16
; MemoryBound: 0
; FloatMode: 240
; IeeeMode: 1
; LDSByteSize: 0 bytes/workgroup (compile time only)
; SGPRBlocks: 4
; VGPRBlocks: 4
; NumSGPRsForWavesPerEU: 40
; NumVGPRsForWavesPerEU: 39
; AccumOffset: 40
; Occupancy: 8
; WaveLimiterHint : 1
; COMPUTE_PGM_RSRC2:SCRATCH_EN: 1
; COMPUTE_PGM_RSRC2:USER_SGPR: 8
; COMPUTE_PGM_RSRC2:TRAP_HANDLER: 0
; COMPUTE_PGM_RSRC2:TGID_X_EN: 1
; COMPUTE_PGM_RSRC2:TGID_Y_EN: 0
; COMPUTE_PGM_RSRC2:TGID_Z_EN: 0
; COMPUTE_PGM_RSRC2:TIDIG_COMP_CNT: 0
; COMPUTE_PGM_RSRC3_GFX90A:ACCUM_OFFSET: 9
; COMPUTE_PGM_RSRC3_GFX90A:TG_SPLIT: 0
	.section	.text._ZL25flash_attn_mask_to_KV_maxILi2EEvPK7__half2Piiii,"axG",@progbits,_ZL25flash_attn_mask_to_KV_maxILi2EEvPK7__half2Piiii,comdat
	.globl	_ZL25flash_attn_mask_to_KV_maxILi2EEvPK7__half2Piiii ; -- Begin function _ZL25flash_attn_mask_to_KV_maxILi2EEvPK7__half2Piiii
	.p2align	8
	.type	_ZL25flash_attn_mask_to_KV_maxILi2EEvPK7__half2Piiii,@function
_ZL25flash_attn_mask_to_KV_maxILi2EEvPK7__half2Piiii: ; @_ZL25flash_attn_mask_to_KV_maxILi2EEvPK7__half2Piiii
; %bb.0:
	s_load_dwordx4 s[8:11], s[4:5], 0x0
	v_cmp_gt_u32_e32 vcc, 32, v0
	s_and_saveexec_b64 s[0:1], vcc
	s_cbranch_execz .LBB5_2
; %bb.1:
	v_lshlrev_b32_e32 v1, 2, v0
	v_mov_b32_e32 v2, 1
	ds_write_b32 v1, v2
.LBB5_2:
	s_or_b64 exec, exec, s[0:1]
	s_load_dwordx4 s[12:15], s[4:5], 0x10
	s_load_dword s16, s[4:5], 0x20
	v_and_b32_e32 v2, 31, v0
	v_lshlrev_b32_e32 v4, 2, v2
	v_lshrrev_b32_e32 v1, 3, v0
	s_waitcnt lgkmcnt(0)
	s_mul_i32 s1, s6, s13
	s_mul_i32 s0, s7, s14
	s_lshl_b32 s1, s1, 1
	s_add_i32 s0, s0, s1
	s_ashr_i32 s1, s0, 31
	s_lshl_b64 s[0:1], s[0:1], 2
	s_add_u32 s17, s8, s0
	s_addc_u32 s18, s9, s1
	v_cmp_eq_u32_e64 s[0:1], 0, v2
	v_mbcnt_lo_u32_b32 v2, -1, 0
	v_mbcnt_hi_u32_b32 v5, -1, v2
	v_and_b32_e32 v2, 0x60, v5
	s_lshl_b32 s12, s12, 8
	s_mov_b64 s[4:5], 0
	v_mov_b32_e32 v3, 0
	s_movk_i32 s19, 0x204
	s_movk_i32 s20, 0x7fff
	;; [unrolled: 1-line block ×3, first 2 shown]
	v_add_u32_e32 v6, 32, v2
	v_xor_b32_e32 v7, 16, v5
	v_xor_b32_e32 v8, 8, v5
	;; [unrolled: 1-line block ×5, first 2 shown]
	s_barrier
	s_waitcnt lgkmcnt(0)
                                        ; implicit-def: $sgpr2_sgpr3
	s_branch .LBB5_5
.LBB5_3:                                ;   in Loop: Header=BB5_5 Depth=1
	s_or_b64 exec, exec, s[8:9]
	s_waitcnt lgkmcnt(0)
	s_barrier
	ds_read_b32 v16, v4
	s_waitcnt lgkmcnt(0)
	s_barrier
	ds_bpermute_b32 v2, v2, v16
	v_cmp_ne_u32_e32 vcc, 0, v16
	s_waitcnt lgkmcnt(0)
	v_cmp_ne_u32_e64 s[2:3], 0, v2
	s_and_b64 s[2:3], vcc, s[2:3]
	v_cndmask_b32_e64 v2, 0, 1, s[2:3]
	ds_bpermute_b32 v2, v12, v2
	s_waitcnt lgkmcnt(0)
	v_cmp_ne_u32_e32 vcc, 0, v2
	s_and_b64 s[2:3], vcc, s[2:3]
	v_cndmask_b32_e64 v2, 0, 1, s[2:3]
	ds_bpermute_b32 v2, v13, v2
	s_waitcnt lgkmcnt(0)
	v_cmp_ne_u32_e32 vcc, 0, v2
	;; [unrolled: 5-line block ×3, first 2 shown]
	s_and_b64 s[2:3], vcc, s[2:3]
	v_cndmask_b32_e64 v2, 0, 1, s[2:3]
	ds_bpermute_b32 v2, v15, v2
	s_xor_b64 s[2:3], s[2:3], -1
	s_waitcnt lgkmcnt(0)
	v_cmp_eq_u32_e32 vcc, 0, v2
	s_or_b64 s[2:3], vcc, s[2:3]
.LBB5_4:                                ;   in Loop: Header=BB5_5 Depth=1
	s_and_b64 s[8:9], exec, s[2:3]
	s_or_b64 s[4:5], s[8:9], s[4:5]
	v_mov_b32_e32 v2, s12
	s_mov_b32 s12, s22
	s_andn2_b64 exec, exec, s[4:5]
	s_cbranch_execz .LBB5_12
.LBB5_5:                                ; =>This Inner Loop Header: Depth=1
	s_add_i32 s22, s12, 0xffffff00
	s_or_b64 s[2:3], s[2:3], exec
	s_cmp_lt_i32 s22, 0
	s_cbranch_scc1 .LBB5_4
; %bb.6:                                ;   in Loop: Header=BB5_5 Depth=1
	s_lshr_b32 s2, s22, 1
	v_add_u32_e32 v2, s2, v0
	v_lshlrev_b64 v[12:13], 2, v[2:3]
	v_mov_b32_e32 v14, s18
	v_add_co_u32_e32 v12, vcc, s17, v12
	v_addc_co_u32_e32 v13, vcc, v14, v13, vcc
	global_load_dword v12, v[12:13], off
	s_mov_b64 s[8:9], 0
	s_waitcnt vmcnt(0)
	v_cmp_class_f16_e64 s[2:3], v12, s19
	v_and_b32_sdwa v12, s20, v12 dst_sel:DWORD dst_unused:UNUSED_PAD src0_sel:DWORD src1_sel:WORD_1
	v_cmp_eq_f16_e32 vcc, s21, v12
	s_and_b64 s[14:15], s[2:3], vcc
	s_and_saveexec_b64 s[2:3], s[14:15]
	s_cbranch_execz .LBB5_10
; %bb.7:                                ;   in Loop: Header=BB5_5 Depth=1
	v_add_u32_e32 v12, s13, v2
	v_ashrrev_i32_e32 v13, 31, v12
	v_lshlrev_b64 v[12:13], 2, v[12:13]
	v_mov_b32_e32 v2, s18
	v_add_co_u32_e32 v12, vcc, s17, v12
	v_addc_co_u32_e32 v13, vcc, v2, v13, vcc
	global_load_dword v2, v[12:13], off
	s_waitcnt vmcnt(0)
	v_cmp_class_f16_e64 s[24:25], v2, s19
	s_and_saveexec_b64 s[14:15], s[24:25]
; %bb.8:                                ;   in Loop: Header=BB5_5 Depth=1
	v_cmp_class_f16_sdwa s[8:9], v2, s19 src0_sel:WORD_1 src1_sel:DWORD
	s_and_b64 s[8:9], s[8:9], exec
; %bb.9:                                ;   in Loop: Header=BB5_5 Depth=1
	s_or_b64 exec, exec, s[14:15]
	s_and_b64 s[8:9], s[8:9], exec
.LBB5_10:                               ;   in Loop: Header=BB5_5 Depth=1
	s_or_b64 exec, exec, s[2:3]
	v_cmp_lt_i32_e32 vcc, v7, v6
	v_cndmask_b32_e32 v2, v5, v7, vcc
	v_cndmask_b32_e64 v12, 0, 1, s[8:9]
	v_lshlrev_b32_e32 v2, 2, v2
	ds_bpermute_b32 v12, v2, v12
	s_waitcnt lgkmcnt(0)
	v_cmp_ne_u32_e32 vcc, 0, v12
	s_and_b64 s[2:3], s[8:9], vcc
	v_cmp_lt_i32_e32 vcc, v8, v6
	v_cndmask_b32_e32 v12, v5, v8, vcc
	v_cndmask_b32_e64 v13, 0, 1, s[2:3]
	v_lshlrev_b32_e32 v12, 2, v12
	ds_bpermute_b32 v13, v12, v13
	s_waitcnt lgkmcnt(0)
	v_cmp_ne_u32_e32 vcc, 0, v13
	s_and_b64 s[2:3], vcc, s[2:3]
	v_cmp_lt_i32_e32 vcc, v9, v6
	v_cndmask_b32_e32 v13, v5, v9, vcc
	v_cndmask_b32_e64 v14, 0, 1, s[2:3]
	v_lshlrev_b32_e32 v13, 2, v13
	ds_bpermute_b32 v14, v13, v14
	s_waitcnt lgkmcnt(0)
	v_cmp_ne_u32_e32 vcc, 0, v14
	s_and_b64 s[2:3], vcc, s[2:3]
	v_cmp_lt_i32_e32 vcc, v10, v6
	v_cndmask_b32_e32 v14, v5, v10, vcc
	v_cndmask_b32_e64 v15, 0, 1, s[2:3]
	v_lshlrev_b32_e32 v14, 2, v14
	ds_bpermute_b32 v15, v14, v15
	s_waitcnt lgkmcnt(0)
	v_cmp_ne_u32_e32 vcc, 0, v15
	s_and_b64 s[2:3], vcc, s[2:3]
	v_cmp_lt_i32_e32 vcc, v11, v6
	v_cndmask_b32_e32 v15, v5, v11, vcc
	v_cndmask_b32_e64 v16, 0, 1, s[2:3]
	v_lshlrev_b32_e32 v15, 2, v15
	ds_bpermute_b32 v16, v15, v16
	s_and_saveexec_b64 s[8:9], s[0:1]
	s_cbranch_execz .LBB5_3
; %bb.11:                               ;   in Loop: Header=BB5_5 Depth=1
	s_waitcnt lgkmcnt(0)
	v_cmp_ne_u32_e32 vcc, 0, v16
	s_and_b64 s[2:3], vcc, s[2:3]
	v_cndmask_b32_e64 v16, 0, 1, s[2:3]
	ds_write_b32 v1, v16
	s_branch .LBB5_3
.LBB5_12:
	s_or_b64 exec, exec, s[4:5]
	v_cmp_eq_u32_e32 vcc, 0, v0
	s_and_saveexec_b64 s[0:1], vcc
	s_cbranch_execz .LBB5_14
; %bb.13:
	s_mul_i32 s0, s16, s7
	s_add_i32 s0, s0, s6
	s_ashr_i32 s1, s0, 31
	s_lshl_b64 s[0:1], s[0:1], 2
	s_add_u32 s0, s10, s0
	s_addc_u32 s1, s11, s1
	v_mov_b32_e32 v0, 0
	global_store_dword v0, v2, s[0:1]
.LBB5_14:
	s_endpgm
	.section	.rodata,"a",@progbits
	.p2align	6, 0x0
	.amdhsa_kernel _ZL25flash_attn_mask_to_KV_maxILi2EEvPK7__half2Piiii
		.amdhsa_group_segment_fixed_size 128
		.amdhsa_private_segment_fixed_size 0
		.amdhsa_kernarg_size 288
		.amdhsa_user_sgpr_count 6
		.amdhsa_user_sgpr_private_segment_buffer 1
		.amdhsa_user_sgpr_dispatch_ptr 0
		.amdhsa_user_sgpr_queue_ptr 0
		.amdhsa_user_sgpr_kernarg_segment_ptr 1
		.amdhsa_user_sgpr_dispatch_id 0
		.amdhsa_user_sgpr_flat_scratch_init 0
		.amdhsa_user_sgpr_kernarg_preload_length 0
		.amdhsa_user_sgpr_kernarg_preload_offset 0
		.amdhsa_user_sgpr_private_segment_size 0
		.amdhsa_uses_dynamic_stack 0
		.amdhsa_system_sgpr_private_segment_wavefront_offset 0
		.amdhsa_system_sgpr_workgroup_id_x 1
		.amdhsa_system_sgpr_workgroup_id_y 1
		.amdhsa_system_sgpr_workgroup_id_z 0
		.amdhsa_system_sgpr_workgroup_info 0
		.amdhsa_system_vgpr_workitem_id 0
		.amdhsa_next_free_vgpr 17
		.amdhsa_next_free_sgpr 26
		.amdhsa_accum_offset 20
		.amdhsa_reserve_vcc 1
		.amdhsa_reserve_flat_scratch 0
		.amdhsa_float_round_mode_32 0
		.amdhsa_float_round_mode_16_64 0
		.amdhsa_float_denorm_mode_32 3
		.amdhsa_float_denorm_mode_16_64 3
		.amdhsa_dx10_clamp 1
		.amdhsa_ieee_mode 1
		.amdhsa_fp16_overflow 0
		.amdhsa_tg_split 0
		.amdhsa_exception_fp_ieee_invalid_op 0
		.amdhsa_exception_fp_denorm_src 0
		.amdhsa_exception_fp_ieee_div_zero 0
		.amdhsa_exception_fp_ieee_overflow 0
		.amdhsa_exception_fp_ieee_underflow 0
		.amdhsa_exception_fp_ieee_inexact 0
		.amdhsa_exception_int_div_zero 0
	.end_amdhsa_kernel
	.section	.text._ZL25flash_attn_mask_to_KV_maxILi2EEvPK7__half2Piiii,"axG",@progbits,_ZL25flash_attn_mask_to_KV_maxILi2EEvPK7__half2Piiii,comdat
.Lfunc_end5:
	.size	_ZL25flash_attn_mask_to_KV_maxILi2EEvPK7__half2Piiii, .Lfunc_end5-_ZL25flash_attn_mask_to_KV_maxILi2EEvPK7__half2Piiii
                                        ; -- End function
	.section	.AMDGPU.csdata,"",@progbits
; Kernel info:
; codeLenInByte = 848
; NumSgprs: 30
; NumVgprs: 17
; NumAgprs: 0
; TotalNumVgprs: 17
; ScratchSize: 0
; MemoryBound: 0
; FloatMode: 240
; IeeeMode: 1
; LDSByteSize: 128 bytes/workgroup (compile time only)
; SGPRBlocks: 3
; VGPRBlocks: 2
; NumSGPRsForWavesPerEU: 30
; NumVGPRsForWavesPerEU: 17
; AccumOffset: 20
; Occupancy: 8
; WaveLimiterHint : 0
; COMPUTE_PGM_RSRC2:SCRATCH_EN: 0
; COMPUTE_PGM_RSRC2:USER_SGPR: 6
; COMPUTE_PGM_RSRC2:TRAP_HANDLER: 0
; COMPUTE_PGM_RSRC2:TGID_X_EN: 1
; COMPUTE_PGM_RSRC2:TGID_Y_EN: 1
; COMPUTE_PGM_RSRC2:TGID_Z_EN: 0
; COMPUTE_PGM_RSRC2:TIDIG_COMP_CNT: 0
; COMPUTE_PGM_RSRC3_GFX90A:ACCUM_OFFSET: 4
; COMPUTE_PGM_RSRC3_GFX90A:TG_SPLIT: 0
	.section	.text._ZL33flash_attn_stream_k_fixup_uniformILi128ELi2ELi16EEvPfPK15HIP_vector_typeIfLj2EEiiiiiiS1_IjLj3EES5_S5_,"axG",@progbits,_ZL33flash_attn_stream_k_fixup_uniformILi128ELi2ELi16EEvPfPK15HIP_vector_typeIfLj2EEiiiiiiS1_IjLj3EES5_S5_,comdat
	.globl	_ZL33flash_attn_stream_k_fixup_uniformILi128ELi2ELi16EEvPfPK15HIP_vector_typeIfLj2EEiiiiiiS1_IjLj3EES5_S5_ ; -- Begin function _ZL33flash_attn_stream_k_fixup_uniformILi128ELi2ELi16EEvPfPK15HIP_vector_typeIfLj2EEiiiiiiS1_IjLj3EES5_S5_
	.p2align	8
	.type	_ZL33flash_attn_stream_k_fixup_uniformILi128ELi2ELi16EEvPfPK15HIP_vector_typeIfLj2EEiiiiiiS1_IjLj3EES5_S5_,@function
_ZL33flash_attn_stream_k_fixup_uniformILi128ELi2ELi16EEvPfPK15HIP_vector_typeIfLj2EEiiiiiiS1_IjLj3EES5_S5_: ; @_ZL33flash_attn_stream_k_fixup_uniformILi128ELi2ELi16EEvPfPK15HIP_vector_typeIfLj2EEiiiiiiS1_IjLj3EES5_S5_
; %bb.0:
	s_load_dwordx8 s[12:19], s[4:5], 0x1c
	s_load_dwordx2 s[10:11], s[4:5], 0x10
	s_load_dwordx4 s[0:3], s[4:5], 0x3c
	s_waitcnt lgkmcnt(0)
	s_mul_hi_u32 s9, s15, s6
	s_add_i32 s9, s6, s9
	s_lshr_b32 s9, s9, s16
	s_mul_i32 s15, s9, s17
	s_sub_i32 s15, s6, s15
	s_mul_hi_u32 s16, s15, s18
	s_add_i32 s16, s15, s16
	s_lshr_b32 s16, s16, s19
	s_mul_i32 s0, s16, s0
	s_sub_i32 s0, s15, s0
	;; [unrolled: 5-line block ×3, first 2 shown]
	s_lshl_b32 s0, s17, 1
	s_lshl_b32 s15, s1, 4
	s_add_i32 s0, s0, s7
	s_cmp_lt_i32 s0, s10
	s_cselect_b64 s[0:1], -1, 0
	s_add_i32 s2, s15, s8
	s_cmp_lt_i32 s2, s13
	s_cselect_b64 s[2:3], -1, 0
	s_and_b64 s[0:1], s[0:1], s[2:3]
	s_andn2_b64 vcc, exec, s[0:1]
	s_cbranch_vccnz .LBB6_6
; %bb.1:
	s_load_dwordx4 s[0:3], s[4:5], 0x0
	s_mul_i32 s4, s9, s10
	s_add_i32 s4, s4, s7
	s_mul_i32 s4, s4, s11
	s_mul_i32 s16, s16, s13
	s_add_i32 s4, s4, s8
	s_add_i32 s4, s4, s16
	s_mul_i32 s5, s11, s17
	s_add_i32 s4, s4, s15
	s_lshl_b32 s5, s5, 8
	s_lshl_b32 s4, s4, 7
	s_add_i32 s5, s5, s4
	v_or_b32_e32 v2, s5, v0
	v_ashrrev_i32_e32 v3, 31, v2
	v_lshlrev_b64 v[2:3], 2, v[2:3]
	s_waitcnt lgkmcnt(0)
	v_mov_b32_e32 v1, s1
	v_add_co_u32_e32 v2, vcc, s0, v2
	v_addc_co_u32_e32 v3, vcc, v1, v3, vcc
	global_load_dword v8, v[2:3], off
	s_mul_i32 s9, s6, s14
	s_lshl_b32 s4, s7, 4
	s_add_i32 s11, s9, s14
	s_add_i32 s0, s4, s8
	s_lshl_b32 s1, s11, 5
	s_add_i32 s0, s0, s1
	s_sub_i32 s0, s0, 32
	s_ashr_i32 s1, s0, 31
	s_lshl_b64 s[0:1], s[0:1], 3
	s_add_u32 s0, s2, s0
	s_addc_u32 s1, s3, s1
	s_load_dword s5, s[0:1], 0x4
	s_add_i32 s10, s11, -2
	s_cmp_lt_i32 s10, s9
	s_cbranch_scc1 .LBB6_4
; %bb.2:
	s_lshl_b32 s16, s12, 7
	s_ashr_i32 s17, s16, 31
	s_lshl_b64 s[16:17], s[16:17], 2
	s_add_u32 s10, s2, s16
	s_addc_u32 s13, s3, s17
	s_add_i32 s6, s6, 1
	s_load_dword s0, s[0:1], 0x0
	s_mul_i32 s1, s14, s6
	s_lshl_b32 s7, s7, 11
	s_lshl_b32 s14, s8, 7
	;; [unrolled: 1-line block ×3, first 2 shown]
	s_add_i32 s7, s14, s7
	s_lshl_b32 s1, s1, 5
	s_add_i32 s7, s7, s6
	s_add_i32 s1, s8, s1
	s_lshl_b32 s6, s12, 5
	s_add_i32 s1, s1, s6
	v_or_b32_e32 v0, s7, v0
	s_add_i32 s1, s1, s4
	s_add_i32 s11, s11, -1
	v_add_u32_e32 v0, 0xffffe000, v0
	s_sub_i32 s4, s1, 64
	s_waitcnt lgkmcnt(0)
	v_mov_b32_e32 v7, s5
	v_mov_b32_e32 v6, s0
	;; [unrolled: 1-line block ×3, first 2 shown]
	s_mov_b32 s6, 0x3fb8aa3b
	s_mov_b32 s7, 0xc2ce8ed0
	;; [unrolled: 1-line block ×3, first 2 shown]
	v_mov_b32_e32 v5, 0x7f800000
	s_mov_b32 s12, 0xc1a00000
.LBB6_3:                                ; =>This Inner Loop Header: Depth=1
	v_ashrrev_i32_e32 v1, 31, v0
	v_lshlrev_b64 v[10:11], 2, v[0:1]
	v_add_co_u32_e32 v10, vcc, s10, v10
	v_addc_co_u32_e32 v11, vcc, v4, v11, vcc
	global_load_dword v1, v[10:11], off
	s_ashr_i32 s5, s4, 31
	s_lshl_b64 s[0:1], s[4:5], 3
	s_add_u32 s0, s2, s0
	s_addc_u32 s1, s3, s1
	s_load_dwordx2 s[14:15], s[0:1], 0x0
	s_waitcnt vmcnt(1)
	v_mov_b32_e32 v9, v8
	v_max_f32_e32 v8, v6, v6
	v_mov_b32_e32 v10, v7
	s_add_i32 s11, s11, -1
	s_waitcnt lgkmcnt(0)
	v_max_f32_e64 v7, s14, s14
	v_max_f32_e32 v7, v8, v7
	v_sub_f32_e32 v11, s14, v7
	v_sub_f32_e32 v8, v6, v7
	v_mul_f32_e32 v12, 0x3fb8aa3b, v11
	v_mov_b32_e32 v6, v7
	v_mul_f32_e32 v7, 0x3fb8aa3b, v8
	v_fma_f32 v15, v11, s6, -v12
	v_rndne_f32_e32 v16, v12
	v_fma_f32 v13, v8, s6, -v7
	v_rndne_f32_e32 v14, v7
	v_fmac_f32_e32 v15, 0x32a5705f, v11
	v_sub_f32_e32 v12, v12, v16
	v_fmac_f32_e32 v13, 0x32a5705f, v8
	v_sub_f32_e32 v7, v7, v14
	v_add_f32_e32 v12, v12, v15
	v_cvt_i32_f32_e32 v16, v16
	v_add_f32_e32 v7, v7, v13
	v_exp_f32_e32 v12, v12
	v_cvt_i32_f32_e32 v14, v14
	v_exp_f32_e32 v7, v7
	v_cmp_ngt_f32_e32 vcc, s7, v11
	v_ldexp_f32 v12, v12, v16
	v_cmp_ngt_f32_e64 s[0:1], s7, v8
	v_ldexp_f32 v7, v7, v14
	v_cndmask_b32_e32 v12, 0, v12, vcc
	v_cmp_nlt_f32_e32 vcc, s8, v11
	v_cndmask_b32_e64 v7, 0, v7, s[0:1]
	v_cmp_nlt_f32_e64 s[0:1], s8, v8
	v_cndmask_b32_e32 v12, v5, v12, vcc
	v_cmp_le_f32_e32 vcc, s12, v11
	v_cndmask_b32_e64 v7, v5, v7, s[0:1]
	v_cmp_le_f32_e64 s[0:1], s12, v8
	v_cndmask_b32_e32 v8, 0, v12, vcc
	s_sub_i32 s4, s4, 32
	v_cndmask_b32_e64 v11, 0, v7, s[0:1]
	v_mul_f32_e32 v7, s15, v8
	v_add_u32_e32 v0, 0xfffff000, v0
	s_cmp_le_i32 s11, s9
	v_fmac_f32_e32 v7, v10, v11
	s_waitcnt vmcnt(0)
	v_mul_f32_e32 v8, v1, v8
	v_fmac_f32_e32 v8, v9, v11
	s_cbranch_scc0 .LBB6_3
	s_branch .LBB6_5
.LBB6_4:
	s_waitcnt lgkmcnt(0)
	v_mov_b32_e32 v7, s5
.LBB6_5:
	s_waitcnt vmcnt(0)
	v_div_scale_f32 v0, s[0:1], v7, v7, v8
	v_rcp_f32_e32 v1, v0
	v_div_scale_f32 v4, vcc, v8, v7, v8
	v_fma_f32 v5, -v0, v1, 1.0
	v_fmac_f32_e32 v1, v5, v1
	v_mul_f32_e32 v5, v4, v1
	v_fma_f32 v6, -v0, v5, v4
	v_fmac_f32_e32 v5, v6, v1
	v_fma_f32 v0, -v0, v5, v4
	v_div_fmas_f32 v0, v0, v1, v5
	v_div_fixup_f32 v0, v0, v7, v8
	global_store_dword v[2:3], v0, off
.LBB6_6:
	s_endpgm
	.section	.rodata,"a",@progbits
	.p2align	6, 0x0
	.amdhsa_kernel _ZL33flash_attn_stream_k_fixup_uniformILi128ELi2ELi16EEvPfPK15HIP_vector_typeIfLj2EEiiiiiiS1_IjLj3EES5_S5_
		.amdhsa_group_segment_fixed_size 0
		.amdhsa_private_segment_fixed_size 0
		.amdhsa_kernarg_size 76
		.amdhsa_user_sgpr_count 6
		.amdhsa_user_sgpr_private_segment_buffer 1
		.amdhsa_user_sgpr_dispatch_ptr 0
		.amdhsa_user_sgpr_queue_ptr 0
		.amdhsa_user_sgpr_kernarg_segment_ptr 1
		.amdhsa_user_sgpr_dispatch_id 0
		.amdhsa_user_sgpr_flat_scratch_init 0
		.amdhsa_user_sgpr_kernarg_preload_length 0
		.amdhsa_user_sgpr_kernarg_preload_offset 0
		.amdhsa_user_sgpr_private_segment_size 0
		.amdhsa_uses_dynamic_stack 0
		.amdhsa_system_sgpr_private_segment_wavefront_offset 0
		.amdhsa_system_sgpr_workgroup_id_x 1
		.amdhsa_system_sgpr_workgroup_id_y 1
		.amdhsa_system_sgpr_workgroup_id_z 1
		.amdhsa_system_sgpr_workgroup_info 0
		.amdhsa_system_vgpr_workitem_id 0
		.amdhsa_next_free_vgpr 17
		.amdhsa_next_free_sgpr 20
		.amdhsa_accum_offset 20
		.amdhsa_reserve_vcc 1
		.amdhsa_reserve_flat_scratch 0
		.amdhsa_float_round_mode_32 0
		.amdhsa_float_round_mode_16_64 0
		.amdhsa_float_denorm_mode_32 3
		.amdhsa_float_denorm_mode_16_64 3
		.amdhsa_dx10_clamp 1
		.amdhsa_ieee_mode 1
		.amdhsa_fp16_overflow 0
		.amdhsa_tg_split 0
		.amdhsa_exception_fp_ieee_invalid_op 0
		.amdhsa_exception_fp_denorm_src 0
		.amdhsa_exception_fp_ieee_div_zero 0
		.amdhsa_exception_fp_ieee_overflow 0
		.amdhsa_exception_fp_ieee_underflow 0
		.amdhsa_exception_fp_ieee_inexact 0
		.amdhsa_exception_int_div_zero 0
	.end_amdhsa_kernel
	.section	.text._ZL33flash_attn_stream_k_fixup_uniformILi128ELi2ELi16EEvPfPK15HIP_vector_typeIfLj2EEiiiiiiS1_IjLj3EES5_S5_,"axG",@progbits,_ZL33flash_attn_stream_k_fixup_uniformILi128ELi2ELi16EEvPfPK15HIP_vector_typeIfLj2EEiiiiiiS1_IjLj3EES5_S5_,comdat
.Lfunc_end6:
	.size	_ZL33flash_attn_stream_k_fixup_uniformILi128ELi2ELi16EEvPfPK15HIP_vector_typeIfLj2EEiiiiiiS1_IjLj3EES5_S5_, .Lfunc_end6-_ZL33flash_attn_stream_k_fixup_uniformILi128ELi2ELi16EEvPfPK15HIP_vector_typeIfLj2EEiiiiiiS1_IjLj3EES5_S5_
                                        ; -- End function
	.section	.AMDGPU.csdata,"",@progbits
; Kernel info:
; codeLenInByte = 856
; NumSgprs: 24
; NumVgprs: 17
; NumAgprs: 0
; TotalNumVgprs: 17
; ScratchSize: 0
; MemoryBound: 0
; FloatMode: 240
; IeeeMode: 1
; LDSByteSize: 0 bytes/workgroup (compile time only)
; SGPRBlocks: 2
; VGPRBlocks: 2
; NumSGPRsForWavesPerEU: 24
; NumVGPRsForWavesPerEU: 17
; AccumOffset: 20
; Occupancy: 8
; WaveLimiterHint : 0
; COMPUTE_PGM_RSRC2:SCRATCH_EN: 0
; COMPUTE_PGM_RSRC2:USER_SGPR: 6
; COMPUTE_PGM_RSRC2:TRAP_HANDLER: 0
; COMPUTE_PGM_RSRC2:TGID_X_EN: 1
; COMPUTE_PGM_RSRC2:TGID_Y_EN: 1
; COMPUTE_PGM_RSRC2:TGID_Z_EN: 1
; COMPUTE_PGM_RSRC2:TIDIG_COMP_CNT: 0
; COMPUTE_PGM_RSRC3_GFX90A:ACCUM_OFFSET: 4
; COMPUTE_PGM_RSRC3_GFX90A:TG_SPLIT: 0
	.section	.text._ZL33flash_attn_stream_k_fixup_generalILi128ELi2ELi16EEvPfPK15HIP_vector_typeIfLj2EEiiiiS1_IjLj3EES5_S5_S5_,"axG",@progbits,_ZL33flash_attn_stream_k_fixup_generalILi128ELi2ELi16EEvPfPK15HIP_vector_typeIfLj2EEiiiiS1_IjLj3EES5_S5_S5_,comdat
	.globl	_ZL33flash_attn_stream_k_fixup_generalILi128ELi2ELi16EEvPfPK15HIP_vector_typeIfLj2EEiiiiS1_IjLj3EES5_S5_S5_ ; -- Begin function _ZL33flash_attn_stream_k_fixup_generalILi128ELi2ELi16EEvPfPK15HIP_vector_typeIfLj2EEiiiiS1_IjLj3EES5_S5_S5_
	.p2align	8
	.type	_ZL33flash_attn_stream_k_fixup_generalILi128ELi2ELi16EEvPfPK15HIP_vector_typeIfLj2EEiiiiS1_IjLj3EES5_S5_S5_,@function
_ZL33flash_attn_stream_k_fixup_generalILi128ELi2ELi16EEvPfPK15HIP_vector_typeIfLj2EEiiiiS1_IjLj3EES5_S5_S5_: ; @_ZL33flash_attn_stream_k_fixup_generalILi128ELi2ELi16EEvPfPK15HIP_vector_typeIfLj2EEiiiiS1_IjLj3EES5_S5_S5_
; %bb.0:
	s_load_dwordx4 s[12:15], s[4:5], 0x10
	s_load_dword s9, s[4:5], 0x50
	s_mov_b32 s2, 0
	s_waitcnt lgkmcnt(0)
	s_mul_hi_i32 s3, s15, s6
	s_cmp_lg_u64 s[2:3], 0
	s_mul_i32 s2, s15, s6
	s_cbranch_scc0 .LBB7_21
; %bb.1:
	v_cvt_f32_u32_e32 v1, s9
	v_cvt_f32_ubyte0_e32 v2, 0
	s_sub_u32 s10, 0, s9
	s_subb_u32 s11, 0, 0
	v_madmk_f32 v1, v2, 0x4f800000, v1
	v_rcp_f32_e32 v1, v1
	v_mul_f32_e32 v1, 0x5f7ffffc, v1
	v_mul_f32_e32 v2, 0x2f800000, v1
	v_trunc_f32_e32 v2, v2
	v_madmk_f32 v1, v2, 0xcf800000, v1
	v_cvt_u32_f32_e32 v2, v2
	v_cvt_u32_f32_e32 v1, v1
	v_readfirstlane_b32 s16, v2
	v_readfirstlane_b32 s17, v1
	s_mul_i32 s18, s10, s16
	s_mul_hi_u32 s20, s10, s17
	s_mul_i32 s19, s11, s17
	s_add_i32 s18, s20, s18
	s_add_i32 s18, s18, s19
	s_mul_i32 s21, s10, s17
	s_mul_hi_u32 s19, s17, s18
	s_mul_i32 s20, s17, s18
	s_mul_hi_u32 s17, s17, s21
	s_add_u32 s17, s17, s20
	s_addc_u32 s19, 0, s19
	s_mul_hi_u32 s22, s16, s21
	s_mul_i32 s21, s16, s21
	s_add_u32 s17, s17, s21
	s_mul_hi_u32 s20, s16, s18
	s_addc_u32 s17, s19, s22
	s_addc_u32 s19, s20, 0
	s_mul_i32 s18, s16, s18
	s_add_u32 s17, s17, s18
	s_addc_u32 s18, 0, s19
	v_add_co_u32_e32 v1, vcc, s17, v1
	s_cmp_lg_u64 vcc, 0
	s_addc_u32 s16, s16, s18
	v_readfirstlane_b32 s18, v1
	s_mul_i32 s17, s10, s16
	s_mul_hi_u32 s19, s10, s18
	s_add_i32 s17, s19, s17
	s_mul_i32 s11, s11, s18
	s_add_i32 s17, s17, s11
	s_mul_i32 s10, s10, s18
	s_mul_hi_u32 s19, s16, s10
	s_mul_i32 s20, s16, s10
	s_mul_i32 s22, s18, s17
	s_mul_hi_u32 s10, s18, s10
	s_mul_hi_u32 s21, s18, s17
	s_add_u32 s10, s10, s22
	s_addc_u32 s18, 0, s21
	s_add_u32 s10, s10, s20
	s_mul_hi_u32 s11, s16, s17
	s_addc_u32 s10, s18, s19
	s_addc_u32 s11, s11, 0
	s_mul_i32 s17, s16, s17
	s_add_u32 s10, s10, s17
	s_addc_u32 s11, 0, s11
	v_add_co_u32_e32 v1, vcc, s10, v1
	s_cmp_lg_u64 vcc, 0
	s_addc_u32 s18, s16, s11
	s_ashr_i32 s10, s3, 31
	s_add_u32 s16, s2, s10
	s_mov_b32 s11, s10
	s_addc_u32 s17, s3, s10
	s_xor_b64 s[16:17], s[16:17], s[10:11]
	v_readfirstlane_b32 s20, v1
	s_mul_i32 s19, s16, s18
	s_mul_hi_u32 s21, s16, s20
	s_mul_hi_u32 s3, s16, s18
	s_add_u32 s19, s21, s19
	s_addc_u32 s3, 0, s3
	s_mul_hi_u32 s22, s17, s20
	s_mul_i32 s20, s17, s20
	s_add_u32 s19, s19, s20
	s_mul_hi_u32 s21, s17, s18
	s_addc_u32 s3, s3, s22
	s_addc_u32 s19, s21, 0
	s_mul_i32 s18, s17, s18
	s_add_u32 s3, s3, s18
	s_addc_u32 s18, 0, s19
	s_add_u32 s19, s3, 1
	s_addc_u32 s20, s18, 0
	s_add_u32 s21, s3, 2
	s_mul_i32 s23, s9, s18
	s_mul_hi_u32 s24, s9, s3
	s_addc_u32 s22, s18, 0
	s_add_i32 s24, s24, s23
	s_mul_i32 s23, s9, s3
	v_mov_b32_e32 v1, s23
	v_sub_co_u32_e32 v1, vcc, s16, v1
	s_cmp_lg_u64 vcc, 0
	s_subb_u32 s16, s17, s24
	v_subrev_co_u32_e32 v2, vcc, s9, v1
	s_cmp_lg_u64 vcc, 0
	s_subb_u32 s17, s16, 0
	v_readfirstlane_b32 s23, v2
	s_cmp_ge_u32 s23, s9
	s_cselect_b32 s23, -1, 0
	s_cmp_eq_u32 s17, 0
	s_cselect_b32 s17, s23, -1
	s_cmp_lg_u32 s17, 0
	s_cselect_b32 s17, s22, s20
	v_readfirstlane_b32 s20, v1
	s_cselect_b32 s19, s21, s19
	s_cmp_ge_u32 s20, s9
	s_cselect_b32 s20, -1, 0
	s_cmp_eq_u32 s16, 0
	s_cselect_b32 s16, s20, -1
	s_cmp_lg_u32 s16, 0
	s_cselect_b32 s17, s17, s18
	s_cselect_b32 s16, s19, s3
	s_xor_b64 s[16:17], s[16:17], s[10:11]
	s_sub_u32 s20, s16, s10
	s_load_dwordx4 s[16:19], s[4:5], 0x44
	s_cbranch_execnz .LBB7_3
.LBB7_2:
	v_cvt_f32_u32_e32 v1, s9
	s_sub_i32 s0, 0, s9
	v_rcp_iflag_f32_e32 v1, v1
	v_mul_f32_e32 v1, 0x4f7ffffe, v1
	v_cvt_u32_f32_e32 v1, v1
	v_readfirstlane_b32 s1, v1
	s_mul_i32 s0, s0, s1
	s_mul_hi_u32 s0, s1, s0
	s_add_i32 s1, s1, s0
	s_mul_hi_u32 s0, s2, s1
	s_mul_i32 s3, s0, s9
	s_sub_i32 s2, s2, s3
	s_add_i32 s1, s0, 1
	s_sub_i32 s3, s2, s9
	s_cmp_ge_u32 s2, s9
	s_cselect_b32 s0, s1, s0
	s_cselect_b32 s2, s3, s2
	s_add_i32 s1, s0, 1
	s_cmp_ge_u32 s2, s9
	s_cselect_b32 s20, s1, s0
.LBB7_3:
	s_add_i32 s0, s6, 1
	s_mul_hi_i32 s3, s15, s0
	s_mov_b32 s2, 0
	s_cmp_lg_u64 s[2:3], 0
	s_mul_i32 s2, s15, s0
	s_cbranch_scc0 .LBB7_22
; %bb.4:
	v_cvt_f32_u32_e32 v1, s9
	v_cvt_f32_ubyte0_e32 v2, 0
	s_sub_u32 s10, 0, s9
	s_subb_u32 s11, 0, 0
	v_madmk_f32 v1, v2, 0x4f800000, v1
	v_rcp_f32_e32 v1, v1
	v_mul_f32_e32 v1, 0x5f7ffffc, v1
	v_mul_f32_e32 v2, 0x2f800000, v1
	v_trunc_f32_e32 v2, v2
	v_madmk_f32 v1, v2, 0xcf800000, v1
	v_cvt_u32_f32_e32 v2, v2
	v_cvt_u32_f32_e32 v1, v1
	s_waitcnt lgkmcnt(0)
	v_readfirstlane_b32 s19, v2
	v_readfirstlane_b32 s21, v1
	s_mul_i32 s22, s10, s19
	s_mul_hi_u32 s24, s10, s21
	s_mul_i32 s23, s11, s21
	s_add_i32 s22, s24, s22
	s_add_i32 s22, s22, s23
	s_mul_i32 s25, s10, s21
	s_mul_hi_u32 s23, s21, s22
	s_mul_i32 s24, s21, s22
	s_mul_hi_u32 s21, s21, s25
	s_add_u32 s21, s21, s24
	s_addc_u32 s23, 0, s23
	s_mul_hi_u32 s26, s19, s25
	s_mul_i32 s25, s19, s25
	s_add_u32 s21, s21, s25
	s_mul_hi_u32 s24, s19, s22
	s_addc_u32 s21, s23, s26
	s_addc_u32 s23, s24, 0
	s_mul_i32 s22, s19, s22
	s_add_u32 s21, s21, s22
	s_addc_u32 s22, 0, s23
	v_add_co_u32_e32 v1, vcc, s21, v1
	s_cmp_lg_u64 vcc, 0
	s_addc_u32 s19, s19, s22
	v_readfirstlane_b32 s22, v1
	s_mul_i32 s21, s10, s19
	s_mul_hi_u32 s23, s10, s22
	s_add_i32 s21, s23, s21
	s_mul_i32 s11, s11, s22
	s_add_i32 s21, s21, s11
	s_mul_i32 s10, s10, s22
	s_mul_hi_u32 s23, s19, s10
	s_mul_i32 s24, s19, s10
	s_mul_i32 s26, s22, s21
	s_mul_hi_u32 s10, s22, s10
	s_mul_hi_u32 s25, s22, s21
	s_add_u32 s10, s10, s26
	s_addc_u32 s22, 0, s25
	s_add_u32 s10, s10, s24
	s_mul_hi_u32 s11, s19, s21
	s_addc_u32 s10, s22, s23
	s_addc_u32 s11, s11, 0
	s_mul_i32 s21, s19, s21
	s_add_u32 s10, s10, s21
	s_addc_u32 s11, 0, s11
	v_add_co_u32_e32 v1, vcc, s10, v1
	s_cmp_lg_u64 vcc, 0
	s_addc_u32 s19, s19, s11
	s_ashr_i32 s10, s3, 31
	s_add_u32 s22, s2, s10
	s_mov_b32 s11, s10
	s_addc_u32 s23, s3, s10
	s_xor_b64 s[22:23], s[22:23], s[10:11]
	v_readfirstlane_b32 s21, v1
	s_mul_i32 s11, s22, s19
	s_mul_hi_u32 s24, s22, s21
	s_mul_hi_u32 s3, s22, s19
	s_add_u32 s11, s24, s11
	s_addc_u32 s3, 0, s3
	s_mul_hi_u32 s25, s23, s21
	s_mul_i32 s21, s23, s21
	s_add_u32 s11, s11, s21
	s_mul_hi_u32 s24, s23, s19
	s_addc_u32 s3, s3, s25
	s_addc_u32 s11, s24, 0
	s_mul_i32 s19, s23, s19
	s_add_u32 s3, s3, s19
	s_addc_u32 s11, 0, s11
	s_mul_i32 s11, s9, s11
	s_mul_hi_u32 s24, s9, s3
	s_add_i32 s24, s24, s11
	s_mul_i32 s11, s9, s3
	v_mov_b32_e32 v1, s11
	s_add_u32 s19, s3, 1
	s_add_u32 s21, s3, 2
	v_sub_co_u32_e32 v1, vcc, s22, v1
	s_cmp_lg_u64 vcc, 0
	s_subb_u32 s11, s23, s24
	v_subrev_co_u32_e32 v2, vcc, s9, v1
	s_cmp_lg_u64 vcc, 0
	s_subb_u32 s22, s11, 0
	v_cmp_le_u32_e32 vcc, s9, v2
	s_cmp_eq_u32 s22, 0
	v_cndmask_b32_e64 v2, 0, -1, vcc
	s_cselect_b64 vcc, -1, 0
	v_cndmask_b32_e32 v2, -1, v2, vcc
	v_mov_b32_e32 v3, s19
	v_mov_b32_e32 v4, s21
	v_cmp_ne_u32_e32 vcc, 0, v2
	v_cndmask_b32_e32 v2, v3, v4, vcc
	v_cmp_le_u32_e32 vcc, s9, v1
	s_cmp_eq_u32 s11, 0
	v_cndmask_b32_e64 v1, 0, -1, vcc
	s_cselect_b64 vcc, -1, 0
	v_cndmask_b32_e32 v1, -1, v1, vcc
	v_mov_b32_e32 v3, s3
	v_cmp_ne_u32_e32 vcc, 0, v1
	v_cndmask_b32_e32 v1, v3, v2, vcc
	v_xor_b32_e32 v1, s10, v1
	v_subrev_co_u32_e32 v2, vcc, s10, v1
	s_cbranch_execnz .LBB7_6
.LBB7_5:
	v_cvt_f32_u32_e32 v1, s9
	s_sub_i32 s0, 0, s9
	s_mov_b32 s1, 0
	v_rcp_iflag_f32_e32 v1, v1
	v_mul_f32_e32 v1, 0x4f7ffffe, v1
	v_cvt_u32_f32_e32 v1, v1
	v_readfirstlane_b32 s3, v1
	s_mul_i32 s0, s0, s3
	s_mul_hi_u32 s0, s3, s0
	s_add_i32 s3, s3, s0
	s_mul_hi_u32 s0, s2, s3
	s_mul_i32 s10, s0, s9
	s_sub_i32 s2, s2, s10
	s_add_i32 s3, s0, 1
	s_sub_i32 s10, s2, s9
	s_cmp_ge_u32 s2, s9
	s_cselect_b32 s0, s3, s0
	s_cselect_b32 s2, s10, s2
	s_add_i32 s3, s0, 1
	s_cmp_ge_u32 s2, s9
	s_cselect_b32 s0, s3, s0
	v_pk_mov_b32 v[2:3], s[0:1], s[0:1] op_sel:[0,1]
.LBB7_6:
	s_waitcnt lgkmcnt(0)
	s_mul_hi_u32 s0, s20, s16
	s_add_i32 s0, s0, s20
	v_mul_hi_u32 v1, v2, s16
	s_lshr_b32 s19, s0, s17
	v_add_u32_e32 v1, v1, v2
	s_mul_i32 s0, s19, s18
	v_lshrrev_b32_e32 v1, s17, v1
	s_cmp_eq_u32 s0, s20
	v_cmp_eq_u32_e64 s[0:1], s19, v1
	v_mul_lo_u32 v1, v1, s18
	v_cmp_eq_u32_e32 vcc, s20, v2
	s_cselect_b64 s[10:11], -1, 0
	v_cmp_ne_u32_e64 s[2:3], v1, v2
	s_and_b64 s[0:1], s[0:1], s[2:3]
	s_or_b64 s[2:3], vcc, s[10:11]
	s_or_b64 s[0:1], s[2:3], s[0:1]
	s_and_b64 vcc, exec, s[0:1]
	s_cbranch_vccnz .LBB7_24
; %bb.7:
	s_load_dwordx8 s[24:31], s[4:5], 0x20
	s_load_dword s0, s[4:5], 0x40
	s_mov_b32 s10, 0
	s_waitcnt lgkmcnt(0)
	s_mul_hi_u32 s1, s20, s24
	s_add_i32 s1, s1, s20
	s_lshr_b32 s11, s1, s25
	s_mul_i32 s1, s11, s26
	s_sub_i32 s1, s20, s1
	s_mul_hi_u32 s2, s1, s27
	s_add_i32 s2, s1, s2
	s_lshr_b32 s24, s2, s28
	s_mul_i32 s2, s24, s29
	s_sub_i32 s1, s1, s2
	s_mul_hi_u32 s2, s1, s30
	s_add_i32 s2, s1, s2
	s_lshr_b32 s2, s2, s31
	s_mul_i32 s0, s2, s0
	s_sub_i32 s0, s1, s0
	s_mul_hi_u32 s1, s0, s16
	s_add_i32 s0, s0, s1
	s_lshr_b32 s26, s0, s17
	s_lshl_b32 s0, s26, 1
	s_lshl_b32 s25, s2, 4
	s_add_i32 s0, s0, s7
	s_cmp_lt_i32 s0, s12
	s_cselect_b64 s[0:1], -1, 0
	s_add_i32 s2, s25, s8
	s_cmp_lt_i32 s2, s14
	s_cselect_b64 s[2:3], -1, 0
	s_and_b64 s[0:1], s[0:1], s[2:3]
	s_andn2_b64 vcc, exec, s[0:1]
	s_cbranch_vccnz .LBB7_24
; %bb.8:
	s_load_dwordx4 s[0:3], s[4:5], 0x0
	s_lshl_b32 s21, s7, 4
	s_lshl_b32 s4, s9, 7
	s_mov_b32 s5, s10
	s_add_i32 s21, s21, s8
	s_lshl_b64 s[4:5], s[4:5], 2
	s_waitcnt lgkmcnt(0)
	s_add_u32 s22, s2, s4
	s_mul_i32 s4, s11, s12
	s_addc_u32 s23, s3, s5
	s_add_i32 s4, s4, s7
	s_mul_i32 s4, s4, s13
	s_mul_i32 s24, s24, s14
	s_add_i32 s4, s4, s8
	s_add_i32 s4, s4, s24
	s_mul_i32 s5, s13, s26
	s_add_i32 s4, s4, s25
	s_lshl_b32 s5, s5, 8
	s_lshl_b32 s4, s4, 7
	s_add_i32 s5, s5, s4
	v_or_b32_e32 v2, s5, v0
	v_ashrrev_i32_e32 v3, 31, v2
	v_lshlrev_b64 v[2:3], 2, v[2:3]
	v_mov_b32_e32 v1, s1
	v_add_co_u32_e32 v2, vcc, s0, v2
	v_addc_co_u32_e32 v3, vcc, v1, v3, vcc
	global_load_dword v5, v[2:3], off
	v_lshl_or_b32 v4, s21, 7, v0
	v_cvt_f32_u32_e32 v0, s9
	v_cvt_f32_ubyte0_e32 v1, 0
	s_lshl_b32 s0, s6, 5
	s_add_i32 s0, s21, s0
	v_mac_f32_e32 v0, 0x4f800000, v1
	v_rcp_f32_e32 v0, v0
	v_cvt_f32_u32_e32 v1, s9
	s_ashr_i32 s1, s0, 31
	s_lshl_b64 s[0:1], s[0:1], 3
	v_mul_f32_e32 v0, 0x5f7ffffc, v0
	v_rcp_iflag_f32_e32 v1, v1
	s_add_u32 s0, s2, s0
	v_mul_f32_e32 v9, 0x2f800000, v0
	s_addc_u32 s1, s3, s1
	v_trunc_f32_e32 v10, v9
	s_load_dwordx2 s[0:1], s[0:1], 0x0
	v_mac_f32_e32 v0, 0xcf800000, v10
	v_cvt_u32_f32_e32 v9, v0
	v_mul_f32_e32 v0, 0x4f7ffffe, v1
	v_cvt_u32_f32_e32 v10, v10
	v_cvt_u32_f32_e32 v11, v0
	s_add_i32 s8, s6, -1
	s_waitcnt lgkmcnt(0)
	v_mov_b32_e32 v6, s1
	v_mov_b32_e32 v7, s0
	v_mov_b32_e32 v8, s20
	s_mov_b32 s6, 0x3fb8aa3b
	s_mov_b32 s7, 0xc2ce8ed0
	;; [unrolled: 1-line block ×4, first 2 shown]
	v_mov_b32_e32 v12, 0x7f800000
	s_mul_hi_i32 s11, s8, s15
	s_cmp_lg_u64 s[10:11], 0
	s_mul_i32 s4, s8, s15
	s_cbranch_scc0 .LBB7_15
.LBB7_9:
	s_sub_u32 s0, 0, s9
	v_readfirstlane_b32 s5, v9
	v_readfirstlane_b32 s24, v10
	s_subb_u32 s1, 0, 0
	s_mul_hi_u32 s20, s0, s5
	s_mul_i32 s25, s0, s24
	s_mul_i32 s14, s1, s5
	s_add_i32 s20, s20, s25
	s_add_i32 s20, s20, s14
	s_mul_i32 s26, s0, s5
	s_mul_hi_u32 s14, s5, s20
	s_mul_i32 s25, s5, s20
	s_mul_hi_u32 s5, s5, s26
	s_add_u32 s5, s5, s25
	s_addc_u32 s14, 0, s14
	s_mul_hi_u32 s27, s24, s26
	s_mul_i32 s26, s24, s26
	s_add_u32 s5, s5, s26
	s_mul_hi_u32 s25, s24, s20
	s_addc_u32 s5, s14, s27
	s_addc_u32 s14, s25, 0
	s_mul_i32 s20, s24, s20
	s_add_u32 s5, s5, s20
	s_addc_u32 s14, 0, s14
	v_add_co_u32_e32 v0, vcc, s5, v9
	s_cmp_lg_u64 vcc, 0
	s_addc_u32 s5, s24, s14
	v_readfirstlane_b32 s20, v0
	s_mul_i32 s14, s0, s5
	s_mul_hi_u32 s24, s0, s20
	s_add_i32 s14, s24, s14
	s_mul_i32 s1, s1, s20
	s_add_i32 s14, s14, s1
	s_mul_i32 s0, s0, s20
	s_mul_hi_u32 s24, s5, s0
	s_mul_i32 s25, s5, s0
	s_mul_i32 s27, s20, s14
	s_mul_hi_u32 s0, s20, s0
	s_mul_hi_u32 s26, s20, s14
	s_add_u32 s0, s0, s27
	s_addc_u32 s20, 0, s26
	s_add_u32 s0, s0, s25
	s_mul_hi_u32 s1, s5, s14
	s_addc_u32 s0, s20, s24
	s_addc_u32 s1, s1, 0
	s_mul_i32 s14, s5, s14
	s_add_u32 s0, s0, s14
	s_addc_u32 s1, 0, s1
	v_add_co_u32_e32 v0, vcc, s0, v0
	s_cmp_lg_u64 vcc, 0
	s_addc_u32 s5, s5, s1
	s_ashr_i32 s0, s11, 31
	s_add_u32 s24, s4, s0
	s_mov_b32 s1, s0
	s_addc_u32 s25, s11, s0
	s_xor_b64 s[24:25], s[24:25], s[0:1]
	v_readfirstlane_b32 s14, v0
	s_mul_i32 s11, s24, s5
	s_mul_hi_u32 s20, s24, s14
	s_mul_hi_u32 s1, s24, s5
	s_add_u32 s11, s20, s11
	s_addc_u32 s1, 0, s1
	s_mul_hi_u32 s26, s25, s14
	s_mul_i32 s14, s25, s14
	s_add_u32 s11, s11, s14
	s_mul_hi_u32 s20, s25, s5
	s_addc_u32 s1, s1, s26
	s_addc_u32 s11, s20, 0
	s_mul_i32 s5, s25, s5
	s_add_u32 s1, s1, s5
	s_addc_u32 s5, 0, s11
	s_mul_i32 s5, s9, s5
	s_mul_hi_u32 s20, s9, s1
	s_add_i32 s20, s20, s5
	s_mul_i32 s5, s9, s1
	v_mov_b32_e32 v0, s5
	s_add_u32 s11, s1, 1
	s_add_u32 s14, s1, 2
	v_sub_co_u32_e32 v0, vcc, s24, v0
	s_cmp_lg_u64 vcc, 0
	s_subb_u32 s5, s25, s20
	v_subrev_co_u32_e32 v1, vcc, s9, v0
	s_cmp_lg_u64 vcc, 0
	s_subb_u32 s20, s5, 0
	v_cmp_le_u32_e32 vcc, s9, v1
	s_cmp_eq_u32 s20, 0
	v_cndmask_b32_e64 v1, 0, -1, vcc
	s_cselect_b64 vcc, -1, 0
	v_cndmask_b32_e32 v1, -1, v1, vcc
	v_mov_b32_e32 v13, s11
	v_mov_b32_e32 v14, s14
	v_cmp_ne_u32_e32 vcc, 0, v1
	v_cndmask_b32_e32 v1, v13, v14, vcc
	v_cmp_le_u32_e32 vcc, s9, v0
	s_cmp_eq_u32 s5, 0
	v_cndmask_b32_e64 v0, 0, -1, vcc
	s_cselect_b64 vcc, -1, 0
	v_cndmask_b32_e32 v0, -1, v0, vcc
	v_mov_b32_e32 v13, s1
	v_cmp_ne_u32_e32 vcc, 0, v0
	v_cndmask_b32_e32 v0, v13, v1, vcc
	v_xor_b32_e32 v0, s0, v0
	v_subrev_co_u32_e32 v0, vcc, s0, v0
	s_cbranch_execnz .LBB7_11
.LBB7_10:
	s_sub_i32 s0, 0, s9
	v_mul_lo_u32 v0, s0, v11
	v_mul_hi_u32 v0, v11, v0
	v_add_u32_e32 v0, v11, v0
	v_mul_hi_u32 v0, s4, v0
	v_mul_lo_u32 v13, v0, s9
	v_sub_u32_e32 v13, s4, v13
	v_add_u32_e32 v1, 1, v0
	v_subrev_u32_e32 v14, s9, v13
	v_cmp_le_u32_e32 vcc, s9, v13
	v_cndmask_b32_e32 v13, v13, v14, vcc
	v_cndmask_b32_e32 v0, v0, v1, vcc
	v_add_u32_e32 v1, 1, v0
	v_cmp_le_u32_e32 vcc, s9, v13
	v_cndmask_b32_e32 v0, v0, v1, vcc
.LBB7_11:
	v_cmp_ne_u32_e32 vcc, v8, v0
	s_cbranch_vccz .LBB7_14
; %bb.12:
	s_add_i32 s0, s8, s9
	s_lshl_b32 s0, s0, 5
	v_mul_hi_u32 v1, v0, s16
	s_add_i32 s0, s0, s21
	s_mov_b32 s1, s10
	v_add_u32_e32 v1, v1, v0
	s_lshl_b64 s[0:1], s[0:1], 3
	v_lshrrev_b32_e32 v1, s17, v1
	s_add_u32 s4, s2, s0
	v_mul_lo_u32 v13, v1, s18
	s_addc_u32 s5, s3, s1
	v_cmp_eq_u32_e32 vcc, v13, v0
	v_cmp_gt_u32_e64 s[0:1], s19, v1
	s_or_b64 s[0:1], s[0:1], vcc
	s_and_b64 vcc, exec, s[0:1]
	s_cbranch_vccnz .LBB7_16
; %bb.13:
	s_add_i32 s11, s8, -1
	s_mov_b64 s[0:1], 0
	s_branch .LBB7_17
.LBB7_14:
                                        ; implicit-def: $sgpr0_sgpr1
                                        ; implicit-def: $vgpr14
                                        ; implicit-def: $vgpr1
                                        ; implicit-def: $vgpr13
                                        ; implicit-def: $sgpr11
                                        ; implicit-def: $vgpr0
	s_branch .LBB7_18
.LBB7_15:
                                        ; implicit-def: $vgpr0_vgpr1
	s_branch .LBB7_10
.LBB7_16:
	s_mov_b64 s[0:1], -1
	s_mov_b32 s11, s8
	v_mov_b32_e32 v0, v8
.LBB7_17:
	v_lshl_add_u32 v14, s8, 12, v4
	v_ashrrev_i32_e32 v15, 31, v14
	v_lshlrev_b64 v[14:15], 2, v[14:15]
	v_mov_b32_e32 v1, s23
	v_add_co_u32_e32 v14, vcc, s22, v14
	v_addc_co_u32_e32 v15, vcc, v1, v15, vcc
	global_load_dword v14, v[14:15], off
	s_load_dwordx2 s[4:5], s[4:5], 0x0
	v_max_f32_e32 v1, v7, v7
	s_waitcnt lgkmcnt(0)
	v_max_f32_e64 v13, s4, s4
	v_max_f32_e32 v1, v1, v13
	v_sub_f32_e32 v13, v7, v1
	v_sub_f32_e32 v15, s4, v1
	v_mul_f32_e32 v16, 0x3fb8aa3b, v13
	v_mul_f32_e32 v17, 0x3fb8aa3b, v15
	v_fma_f32 v18, v13, s6, -v16
	v_rndne_f32_e32 v19, v16
	v_fma_f32 v20, v15, s6, -v17
	v_rndne_f32_e32 v21, v17
	v_fmac_f32_e32 v18, 0x32a5705f, v13
	v_sub_f32_e32 v16, v16, v19
	v_fmac_f32_e32 v20, 0x32a5705f, v15
	v_sub_f32_e32 v17, v17, v21
	v_add_f32_e32 v16, v16, v18
	v_cvt_i32_f32_e32 v19, v19
	v_add_f32_e32 v17, v17, v20
	v_exp_f32_e32 v16, v16
	v_cvt_i32_f32_e32 v21, v21
	v_exp_f32_e32 v17, v17
	v_cmp_ngt_f32_e32 vcc, s7, v13
	v_ldexp_f32 v16, v16, v19
	v_cndmask_b32_e32 v16, 0, v16, vcc
	v_ldexp_f32 v17, v17, v21
	v_cmp_ngt_f32_e32 vcc, s7, v15
	v_cndmask_b32_e32 v17, 0, v17, vcc
	v_cmp_nlt_f32_e32 vcc, s12, v13
	v_cndmask_b32_e32 v16, v12, v16, vcc
	v_cmp_nlt_f32_e32 vcc, s12, v15
	v_cndmask_b32_e32 v17, v12, v17, vcc
	v_cmp_le_f32_e32 vcc, s13, v13
	v_cndmask_b32_e32 v16, 0, v16, vcc
	v_cmp_le_f32_e32 vcc, s13, v15
	v_cndmask_b32_e32 v15, 0, v17, vcc
	v_mul_f32_e32 v13, s5, v15
	v_fmac_f32_e32 v13, v6, v16
	s_waitcnt vmcnt(0)
	v_mul_f32_e32 v14, v14, v15
	v_fmac_f32_e32 v14, v5, v16
	s_cbranch_execnz .LBB7_19
.LBB7_18:
	s_add_i32 s11, s8, -1
	s_mov_b64 s[0:1], 0
	v_mov_b32_e32 v0, v8
	v_mov_b32_e32 v13, v6
	;; [unrolled: 1-line block ×3, first 2 shown]
	s_waitcnt vmcnt(0)
	v_mov_b32_e32 v14, v5
.LBB7_19:
	s_andn2_b64 vcc, exec, s[0:1]
	s_cbranch_vccz .LBB7_23
; %bb.20:
	v_mov_b32_e32 v8, v0
	s_mov_b32 s8, s11
	v_mov_b32_e32 v6, v13
	v_mov_b32_e32 v7, v1
	s_waitcnt vmcnt(0)
	v_mov_b32_e32 v5, v14
	s_mul_hi_i32 s11, s8, s15
	s_cmp_lg_u64 s[10:11], 0
	s_mul_i32 s4, s8, s15
	s_cbranch_scc1 .LBB7_9
	s_branch .LBB7_15
.LBB7_21:
                                        ; implicit-def: $sgpr20_sgpr21
	s_load_dwordx4 s[16:19], s[4:5], 0x44
	s_branch .LBB7_2
.LBB7_22:
                                        ; implicit-def: $vgpr2_vgpr3
	s_branch .LBB7_5
.LBB7_23:
	v_div_scale_f32 v0, s[0:1], v13, v13, v14
	v_rcp_f32_e32 v1, v0
	v_div_scale_f32 v4, vcc, v14, v13, v14
	s_waitcnt vmcnt(0)
	v_fma_f32 v5, -v0, v1, 1.0
	v_fmac_f32_e32 v1, v5, v1
	v_mul_f32_e32 v5, v4, v1
	v_fma_f32 v6, -v0, v5, v4
	v_fmac_f32_e32 v5, v6, v1
	v_fma_f32 v0, -v0, v5, v4
	v_div_fmas_f32 v0, v0, v1, v5
	v_div_fixup_f32 v0, v0, v13, v14
	global_store_dword v[2:3], v0, off
.LBB7_24:
	s_endpgm
	.section	.rodata,"a",@progbits
	.p2align	6, 0x0
	.amdhsa_kernel _ZL33flash_attn_stream_k_fixup_generalILi128ELi2ELi16EEvPfPK15HIP_vector_typeIfLj2EEiiiiS1_IjLj3EES5_S5_S5_
		.amdhsa_group_segment_fixed_size 0
		.amdhsa_private_segment_fixed_size 0
		.amdhsa_kernarg_size 336
		.amdhsa_user_sgpr_count 6
		.amdhsa_user_sgpr_private_segment_buffer 1
		.amdhsa_user_sgpr_dispatch_ptr 0
		.amdhsa_user_sgpr_queue_ptr 0
		.amdhsa_user_sgpr_kernarg_segment_ptr 1
		.amdhsa_user_sgpr_dispatch_id 0
		.amdhsa_user_sgpr_flat_scratch_init 0
		.amdhsa_user_sgpr_kernarg_preload_length 0
		.amdhsa_user_sgpr_kernarg_preload_offset 0
		.amdhsa_user_sgpr_private_segment_size 0
		.amdhsa_uses_dynamic_stack 0
		.amdhsa_system_sgpr_private_segment_wavefront_offset 0
		.amdhsa_system_sgpr_workgroup_id_x 1
		.amdhsa_system_sgpr_workgroup_id_y 1
		.amdhsa_system_sgpr_workgroup_id_z 1
		.amdhsa_system_sgpr_workgroup_info 0
		.amdhsa_system_vgpr_workitem_id 0
		.amdhsa_next_free_vgpr 22
		.amdhsa_next_free_sgpr 32
		.amdhsa_accum_offset 24
		.amdhsa_reserve_vcc 1
		.amdhsa_reserve_flat_scratch 0
		.amdhsa_float_round_mode_32 0
		.amdhsa_float_round_mode_16_64 0
		.amdhsa_float_denorm_mode_32 3
		.amdhsa_float_denorm_mode_16_64 3
		.amdhsa_dx10_clamp 1
		.amdhsa_ieee_mode 1
		.amdhsa_fp16_overflow 0
		.amdhsa_tg_split 0
		.amdhsa_exception_fp_ieee_invalid_op 0
		.amdhsa_exception_fp_denorm_src 0
		.amdhsa_exception_fp_ieee_div_zero 0
		.amdhsa_exception_fp_ieee_overflow 0
		.amdhsa_exception_fp_ieee_underflow 0
		.amdhsa_exception_fp_ieee_inexact 0
		.amdhsa_exception_int_div_zero 0
	.end_amdhsa_kernel
	.section	.text._ZL33flash_attn_stream_k_fixup_generalILi128ELi2ELi16EEvPfPK15HIP_vector_typeIfLj2EEiiiiS1_IjLj3EES5_S5_S5_,"axG",@progbits,_ZL33flash_attn_stream_k_fixup_generalILi128ELi2ELi16EEvPfPK15HIP_vector_typeIfLj2EEiiiiS1_IjLj3EES5_S5_S5_,comdat
.Lfunc_end7:
	.size	_ZL33flash_attn_stream_k_fixup_generalILi128ELi2ELi16EEvPfPK15HIP_vector_typeIfLj2EEiiiiS1_IjLj3EES5_S5_S5_, .Lfunc_end7-_ZL33flash_attn_stream_k_fixup_generalILi128ELi2ELi16EEvPfPK15HIP_vector_typeIfLj2EEiiiiS1_IjLj3EES5_S5_S5_
                                        ; -- End function
	.section	.AMDGPU.csdata,"",@progbits
; Kernel info:
; codeLenInByte = 2824
; NumSgprs: 36
; NumVgprs: 22
; NumAgprs: 0
; TotalNumVgprs: 22
; ScratchSize: 0
; MemoryBound: 0
; FloatMode: 240
; IeeeMode: 1
; LDSByteSize: 0 bytes/workgroup (compile time only)
; SGPRBlocks: 4
; VGPRBlocks: 2
; NumSGPRsForWavesPerEU: 36
; NumVGPRsForWavesPerEU: 22
; AccumOffset: 24
; Occupancy: 8
; WaveLimiterHint : 0
; COMPUTE_PGM_RSRC2:SCRATCH_EN: 0
; COMPUTE_PGM_RSRC2:USER_SGPR: 6
; COMPUTE_PGM_RSRC2:TRAP_HANDLER: 0
; COMPUTE_PGM_RSRC2:TGID_X_EN: 1
; COMPUTE_PGM_RSRC2:TGID_Y_EN: 1
; COMPUTE_PGM_RSRC2:TGID_Z_EN: 1
; COMPUTE_PGM_RSRC2:TIDIG_COMP_CNT: 0
; COMPUTE_PGM_RSRC3_GFX90A:ACCUM_OFFSET: 5
; COMPUTE_PGM_RSRC3_GFX90A:TG_SPLIT: 0
	.section	.text._ZL26flash_attn_combine_resultsILi128EEvPKfPK15HIP_vector_typeIfLj2EEPfi,"axG",@progbits,_ZL26flash_attn_combine_resultsILi128EEvPKfPK15HIP_vector_typeIfLj2EEPfi,comdat
	.globl	_ZL26flash_attn_combine_resultsILi128EEvPKfPK15HIP_vector_typeIfLj2EEPfi ; -- Begin function _ZL26flash_attn_combine_resultsILi128EEvPKfPK15HIP_vector_typeIfLj2EEPfi
	.p2align	8
	.type	_ZL26flash_attn_combine_resultsILi128EEvPKfPK15HIP_vector_typeIfLj2EEPfi,@function
_ZL26flash_attn_combine_resultsILi128EEvPKfPK15HIP_vector_typeIfLj2EEPfi: ; @_ZL26flash_attn_combine_resultsILi128EEvPKfPK15HIP_vector_typeIfLj2EEPfi
; %bb.0:
	s_load_dwordx2 s[10:11], s[4:5], 0x20
	s_load_dword s17, s[4:5], 0x18
	s_load_dwordx4 s[0:3], s[4:5], 0x0
	s_load_dwordx2 s[14:15], s[4:5], 0x10
	s_waitcnt lgkmcnt(0)
	s_mul_i32 s4, s10, s8
	s_add_i32 s4, s4, s6
	s_mul_i32 s16, s4, s11
	s_add_i32 s16, s16, s7
	s_lshl_b32 s18, s17, 1
	s_mul_i32 s4, s16, s17
	v_cmp_gt_i32_e32 vcc, s18, v0
	s_and_saveexec_b64 s[6:7], vcc
	s_cbranch_execz .LBB8_13
; %bb.1:
	v_xad_u32 v1, v0, -1, s18
	s_movk_i32 s8, 0x7f
	s_ashr_i32 s5, s4, 31
	v_cmp_lt_u32_e32 vcc, s8, v1
	s_mov_b64 s[10:11], -1
	v_mov_b32_e32 v2, v0
	s_and_saveexec_b64 s[8:9], vcc
	s_cbranch_execz .LBB8_10
; %bb.2:
	v_lshrrev_b32_e32 v6, 7, v1
	s_lshl_b64 s[10:11], s[4:5], 3
	v_add_u32_e32 v2, -1, v6
	s_add_u32 s19, s2, s10
	v_or_b32_e32 v1, 0x80, v0
	v_lshrrev_b32_e32 v3, 1, v2
	s_addc_u32 s20, s3, s11
	v_add_u32_e32 v7, 1, v3
	v_cmp_lt_u32_e32 vcc, 13, v2
	v_mov_b32_e32 v4, 0
	v_pk_mov_b32 v[2:3], v[0:1], v[0:1] op_sel:[0,1]
	s_and_saveexec_b64 s[10:11], vcc
	s_cbranch_execz .LBB8_6
; %bb.3:
	v_and_b32_e32 v8, -8, v7
	s_mov_b32 s21, 0
	v_lshl_add_u32 v9, v0, 2, 0
	s_mov_b64 s[12:13], 0
	v_mov_b32_e32 v10, s20
	v_mov_b32_e32 v5, 0
	v_pk_mov_b32 v[2:3], v[0:1], v[0:1] op_sel:[0,1]
.LBB8_4:                                ; =>This Inner Loop Header: Depth=1
	v_mov_b32_e32 v4, v2
	v_lshlrev_b64 v[26:27], 2, v[4:5]
	v_add_u32_e32 v12, 0x100, v3
	v_mov_b32_e32 v13, v5
	v_add_co_u32_e32 v26, vcc, s19, v26
	v_lshlrev_b64 v[12:13], 2, v[12:13]
	v_addc_co_u32_e32 v27, vcc, v10, v27, vcc
	v_add_u32_e32 v14, 0x200, v3
	v_mov_b32_e32 v15, v5
	v_add_co_u32_e32 v12, vcc, s19, v12
	v_lshlrev_b64 v[14:15], 2, v[14:15]
	v_addc_co_u32_e32 v13, vcc, v10, v13, vcc
	;; [unrolled: 5-line block ×7, first 2 shown]
	v_mov_b32_e32 v4, v3
	v_add_co_u32_e32 v24, vcc, s19, v24
	v_lshlrev_b64 v[28:29], 2, v[4:5]
	v_addc_co_u32_e32 v25, vcc, v10, v25, vcc
	v_add_u32_e32 v4, 0x100, v2
	v_add_co_u32_e32 v28, vcc, s19, v28
	v_addc_co_u32_e32 v29, vcc, v10, v29, vcc
	global_load_dword v1, v[26:27], off
	v_lshlrev_b64 v[26:27], 2, v[4:5]
	v_add_u32_e32 v4, 0x200, v2
	v_add_co_u32_e32 v26, vcc, s19, v26
	v_addc_co_u32_e32 v27, vcc, v10, v27, vcc
	v_lshlrev_b64 v[30:31], 2, v[4:5]
	v_add_u32_e32 v4, 0x300, v2
	global_load_dword v11, v[28:29], off
	global_load_dword v32, v[26:27], off
	;; [unrolled: 1-line block ×3, first 2 shown]
	v_add_co_u32_e32 v12, vcc, s19, v30
	v_addc_co_u32_e32 v13, vcc, v10, v31, vcc
	v_lshlrev_b64 v[26:27], 2, v[4:5]
	v_add_u32_e32 v4, 0x400, v2
	v_add_co_u32_e32 v26, vcc, s19, v26
	v_addc_co_u32_e32 v27, vcc, v10, v27, vcc
	v_lshlrev_b64 v[28:29], 2, v[4:5]
	v_add_u32_e32 v4, 0x500, v2
	global_load_dword v30, v[12:13], off
	global_load_dword v31, v[14:15], off
	;; [unrolled: 1-line block ×4, first 2 shown]
	v_add_co_u32_e32 v12, vcc, s19, v28
	v_addc_co_u32_e32 v13, vcc, v10, v29, vcc
	v_lshlrev_b64 v[14:15], 2, v[4:5]
	v_add_u32_e32 v4, 0x600, v2
	v_add_co_u32_e32 v14, vcc, s19, v14
	v_addc_co_u32_e32 v15, vcc, v10, v15, vcc
	v_lshlrev_b64 v[16:17], 2, v[4:5]
	v_add_u32_e32 v4, 0x700, v2
	global_load_dword v26, v[12:13], off
	global_load_dword v27, v[18:19], off
	;; [unrolled: 1-line block ×4, first 2 shown]
	v_add_co_u32_e32 v12, vcc, s19, v16
	v_addc_co_u32_e32 v13, vcc, v10, v17, vcc
	v_lshlrev_b64 v[14:15], 2, v[4:5]
	v_add_co_u32_e32 v14, vcc, s19, v14
	v_addc_co_u32_e32 v15, vcc, v10, v15, vcc
	global_load_dword v16, v[12:13], off
	global_load_dword v17, v[22:23], off
	;; [unrolled: 1-line block ×4, first 2 shown]
	v_add_u32_e32 v8, -8, v8
	s_add_i32 s21, s21, 16
	v_cmp_eq_u32_e32 vcc, 0, v8
	v_add_u32_e32 v3, 0x800, v3
	v_mov_b32_e32 v4, s21
	s_or_b64 s[12:13], vcc, s[12:13]
	v_add_u32_e32 v2, 0x800, v2
	s_waitcnt vmcnt(14)
	ds_write2st64_b32 v9, v1, v11 offset1:2
	s_waitcnt vmcnt(12)
	ds_write2st64_b32 v9, v32, v33 offset0:4 offset1:6
	s_waitcnt vmcnt(10)
	ds_write2st64_b32 v9, v30, v31 offset0:8 offset1:10
	;; [unrolled: 2-line block ×7, first 2 shown]
	v_add_u32_e32 v9, 0x2000, v9
	s_andn2_b64 exec, exec, s[12:13]
	s_cbranch_execnz .LBB8_4
; %bb.5:
	s_or_b64 exec, exec, s[12:13]
.LBB8_6:
	s_or_b64 exec, exec, s[10:11]
	v_and_b32_e32 v1, 7, v7
	v_cmp_ne_u32_e32 vcc, 0, v1
	s_and_saveexec_b64 s[10:11], vcc
	s_cbranch_execz .LBB8_9
; %bb.7:
	v_lshlrev_b32_e32 v5, 2, v0
	v_lshl_or_b32 v4, v4, 9, v5
	v_add_u32_e32 v7, 0, v4
	s_mov_b64 s[12:13], 0
	v_mov_b32_e32 v8, s20
	v_mov_b32_e32 v5, 0
.LBB8_8:                                ; =>This Inner Loop Header: Depth=1
	v_mov_b32_e32 v4, v2
	v_lshlrev_b64 v[10:11], 2, v[4:5]
	v_mov_b32_e32 v4, v3
	v_add_co_u32_e32 v10, vcc, s19, v10
	v_addc_co_u32_e32 v11, vcc, v8, v11, vcc
	v_lshlrev_b64 v[12:13], 2, v[4:5]
	v_add_co_u32_e32 v12, vcc, s19, v12
	v_addc_co_u32_e32 v13, vcc, v8, v13, vcc
	global_load_dword v4, v[10:11], off
	global_load_dword v9, v[12:13], off
	v_add_u32_e32 v1, -1, v1
	v_cmp_eq_u32_e32 vcc, 0, v1
	v_add_u32_e32 v2, 0x100, v2
	v_add_u32_e32 v3, 0x100, v3
	s_or_b64 s[12:13], vcc, s[12:13]
	s_waitcnt vmcnt(0)
	ds_write2st64_b32 v7, v4, v9 offset1:2
	v_add_u32_e32 v7, 0x400, v7
	s_andn2_b64 exec, exec, s[12:13]
	s_cbranch_execnz .LBB8_8
.LBB8_9:
	s_or_b64 exec, exec, s[10:11]
	v_add_u32_e32 v1, 1, v6
	v_and_b32_e32 v3, 0x3fffffe, v1
	v_cmp_ne_u32_e32 vcc, v1, v3
	v_lshl_or_b32 v2, v3, 7, v0
	s_orn2_b64 s[10:11], vcc, exec
.LBB8_10:
	s_or_b64 exec, exec, s[8:9]
	s_and_b64 exec, exec, s[10:11]
	s_cbranch_execz .LBB8_13
; %bb.11:
	s_lshl_b64 s[8:9], s[4:5], 3
	v_mov_b32_e32 v3, 0
	s_add_u32 s2, s2, s8
	v_lshlrev_b64 v[4:5], 2, v[2:3]
	s_addc_u32 s3, s3, s9
	v_mov_b32_e32 v1, s3
	v_add_co_u32_e32 v4, vcc, s2, v4
	v_addc_co_u32_e32 v5, vcc, v1, v5, vcc
	v_lshl_add_u32 v1, v2, 2, 0
	s_mov_b64 s[2:3], 0
.LBB8_12:                               ; =>This Inner Loop Header: Depth=1
	global_load_dword v3, v[4:5], off
	v_add_co_u32_e32 v4, vcc, 0x200, v4
	v_add_u32_e32 v2, 0x80, v2
	v_addc_co_u32_e32 v5, vcc, 0, v5, vcc
	v_cmp_le_i32_e32 vcc, s18, v2
	s_or_b64 s[2:3], vcc, s[2:3]
	s_waitcnt vmcnt(0)
	ds_write_b32 v1, v3
	v_add_u32_e32 v1, 0x200, v1
	s_andn2_b64 exec, exec, s[2:3]
	s_cbranch_execnz .LBB8_12
.LBB8_13:
	s_or_b64 exec, exec, s[6:7]
	v_mov_b32_e32 v1, 0
	s_waitcnt lgkmcnt(0)
	s_barrier
	ds_read_b32 v1, v1
	s_cmp_lt_i32 s17, 2
	s_cbranch_scc1 .LBB8_21
; %bb.14:
	s_add_i32 s2, s17, -1
	s_add_i32 s3, s17, -2
	s_cmp_lt_u32 s3, 7
	s_cbranch_scc1 .LBB8_18
; %bb.15:
	s_mov_b32 s6, 0
	s_add_i32 s3, 0, 8
	s_and_b32 s5, s2, -8
.LBB8_16:                               ; =>This Inner Loop Header: Depth=1
	v_mov_b32_e32 v8, s3
	ds_read2_b32 v[2:3], v8 offset1:2
	ds_read2_b32 v[4:5], v8 offset0:4 offset1:6
	ds_read2_b32 v[6:7], v8 offset0:8 offset1:10
	;; [unrolled: 1-line block ×3, first 2 shown]
	s_mov_b32 s7, s6
	s_waitcnt lgkmcnt(3)
	v_max3_f32 v1, v1, v2, v3
	s_waitcnt lgkmcnt(2)
	v_max3_f32 v1, v1, v4, v5
	s_add_i32 s3, s3, 64
	s_add_i32 s6, s6, 8
	s_waitcnt lgkmcnt(1)
	v_max3_f32 v1, v1, v6, v7
	s_cmp_eq_u32 s5, s6
	s_waitcnt lgkmcnt(0)
	v_max3_f32 v1, v1, v8, v9
	s_cbranch_scc0 .LBB8_16
; %bb.17:
	s_add_i32 s3, s7, 9
	s_and_b32 s2, s2, 7
	s_cmp_eq_u32 s2, 0
	s_cbranch_scc0 .LBB8_19
	s_branch .LBB8_21
.LBB8_18:
	s_mov_b32 s3, 1
	s_and_b32 s2, s2, 7
	s_cmp_eq_u32 s2, 0
	s_cbranch_scc1 .LBB8_21
.LBB8_19:
	s_lshl_b32 s3, s3, 3
	s_add_i32 s3, s3, 0
.LBB8_20:                               ; =>This Inner Loop Header: Depth=1
	v_mov_b32_e32 v2, s3
	ds_read_b32 v2, v2
	s_waitcnt lgkmcnt(1)
	v_max_f32_e32 v1, v1, v1
	s_add_i32 s3, s3, 8
	s_add_i32 s2, s2, -1
	s_cmp_lg_u32 s2, 0
	s_waitcnt lgkmcnt(0)
	v_max_f32_e32 v2, v2, v2
	v_max_f32_e32 v1, v1, v2
	s_cbranch_scc1 .LBB8_20
.LBB8_21:
	s_cmp_lt_i32 s17, 1
	s_cbranch_scc1 .LBB8_26
; %bb.22:
	s_lshl_b32 s2, s4, 7
	s_ashr_i32 s3, s2, 31
	s_lshl_b64 s[2:3], s[2:3], 2
	s_add_u32 s18, s0, s2
	s_addc_u32 s19, s1, s3
	s_cmp_lt_u32 s17, 8
	v_mov_b32_e32 v6, 0
	s_cbranch_scc1 .LBB8_27
; %bb.23:
	s_and_b32 s20, s17, 0x7ffffff8
	v_or_b32_e32 v2, 0x380, v0
	s_mov_b32 s21, 0
	v_mov_b32_e32 v5, 0
	s_mov_b32 s22, 0x3fb8aa3b
	s_mov_b32 s23, 0xc2ce8ed0
	;; [unrolled: 1-line block ×3, first 2 shown]
	v_mov_b32_e32 v8, 0x7f800000
	v_mov_b32_e32 v9, s19
	s_mov_b32 s25, 0
	v_mov_b32_e32 v7, 0
	v_mov_b32_e32 v6, 0
.LBB8_24:                               ; =>This Inner Loop Header: Depth=1
	v_add_u32_e32 v4, 0xfffffc80, v2
	v_lshlrev_b64 v[26:27], 2, v[4:5]
	v_mov_b32_e32 v3, v5
	v_add_co_u32_e32 v26, vcc, s18, v26
	v_lshlrev_b64 v[28:29], 2, v[2:3]
	v_addc_co_u32_e32 v27, vcc, v9, v27, vcc
	v_add_u32_e32 v4, 0xfffffd00, v2
	v_add_co_u32_e32 v28, vcc, s18, v28
	v_mov_b32_e32 v22, s21
	v_lshlrev_b64 v[30:31], 2, v[4:5]
	v_addc_co_u32_e32 v29, vcc, v9, v29, vcc
	ds_read2_b64 v[10:13], v22 offset1:1
	ds_read2_b64 v[14:17], v22 offset0:2 offset1:3
	ds_read2_b64 v[18:21], v22 offset0:4 offset1:5
	;; [unrolled: 1-line block ×3, first 2 shown]
	v_add_u32_e32 v4, 0xfffffd80, v2
	global_load_dword v3, v[26:27], off
	v_add_co_u32_e32 v26, vcc, s18, v30
	v_addc_co_u32_e32 v27, vcc, v9, v31, vcc
	v_lshlrev_b64 v[30:31], 2, v[4:5]
	v_add_u32_e32 v4, 0xfffffe00, v2
	v_add_co_u32_e32 v30, vcc, s18, v30
	v_addc_co_u32_e32 v31, vcc, v9, v31, vcc
	v_lshlrev_b64 v[32:33], 2, v[4:5]
	v_add_u32_e32 v4, 0xfffffe80, v2
	global_load_dword v34, v[26:27], off
	global_load_dword v35, v[30:31], off
	v_add_co_u32_e32 v26, vcc, s18, v32
	v_addc_co_u32_e32 v27, vcc, v9, v33, vcc
	v_lshlrev_b64 v[30:31], 2, v[4:5]
	v_add_u32_e32 v4, 0xffffff00, v2
	v_add_co_u32_e32 v30, vcc, s18, v30
	v_addc_co_u32_e32 v31, vcc, v9, v31, vcc
	v_lshlrev_b64 v[32:33], 2, v[4:5]
	global_load_dword v36, v[26:27], off
	v_add_u32_e32 v4, 0xffffff80, v2
	global_load_dword v28, v[28:29], off
	v_add_co_u32_e32 v26, vcc, s18, v32
	v_addc_co_u32_e32 v27, vcc, v9, v33, vcc
	global_load_dword v42, v[30:31], off
	s_waitcnt lgkmcnt(3)
	v_sub_f32_e32 v12, v12, v1
	global_load_dword v26, v[26:27], off
	v_lshlrev_b64 v[30:31], 2, v[4:5]
	v_add_co_u32_e32 v30, vcc, s18, v30
	v_addc_co_u32_e32 v31, vcc, v9, v31, vcc
	global_load_dword v30, v[30:31], off
	s_waitcnt lgkmcnt(2)
	v_sub_f32_e32 v14, v14, v1
	v_sub_f32_e32 v10, v10, v1
	v_mul_f32_e32 v38, 0x3fb8aa3b, v12
	v_mul_f32_e32 v39, 0x3fb8aa3b, v14
	s_waitcnt lgkmcnt(1)
	v_sub_f32_e32 v18, v18, v1
	s_waitcnt lgkmcnt(0)
	v_sub_f32_e32 v22, v22, v1
	v_mul_f32_e32 v37, 0x3fb8aa3b, v10
	v_fma_f32 v45, v12, s22, -v38
	v_rndne_f32_e32 v46, v38
	v_fma_f32 v47, v14, s22, -v39
	v_rndne_f32_e32 v48, v39
	v_sub_f32_e32 v16, v16, v1
	v_sub_f32_e32 v20, v20, v1
	v_mul_f32_e32 v41, 0x3fb8aa3b, v18
	v_mul_f32_e32 v32, 0x3fb8aa3b, v22
	v_fma_f32 v33, v10, s22, -v37
	v_rndne_f32_e32 v44, v37
	v_fmac_f32_e32 v45, 0x32a5705f, v12
	v_sub_f32_e32 v38, v38, v46
	v_fmac_f32_e32 v47, 0x32a5705f, v14
	v_sub_f32_e32 v39, v39, v48
	v_mul_f32_e32 v40, 0x3fb8aa3b, v16
	v_mul_f32_e32 v43, 0x3fb8aa3b, v20
	v_fma_f32 v27, v18, s22, -v41
	v_rndne_f32_e32 v31, v41
	v_fmac_f32_e32 v33, 0x32a5705f, v10
	v_sub_f32_e32 v37, v37, v44
	v_add_f32_e32 v38, v38, v45
	v_fma_f32 v45, v22, s22, -v32
	v_add_f32_e32 v39, v39, v47
	v_rndne_f32_e32 v47, v32
	v_fma_f32 v49, v16, s22, -v40
	v_rndne_f32_e32 v50, v40
	v_fma_f32 v29, v20, s22, -v43
	v_add_f32_e32 v33, v37, v33
	v_rndne_f32_e32 v37, v43
	v_fmac_f32_e32 v27, 0x32a5705f, v18
	v_sub_f32_e32 v41, v41, v31
	v_fmac_f32_e32 v45, 0x32a5705f, v22
	v_sub_f32_e32 v32, v32, v47
	;; [unrolled: 2-line block ×3, first 2 shown]
	v_add_f32_e32 v27, v41, v27
	v_cvt_i32_f32_e32 v44, v44
	v_fmac_f32_e32 v29, 0x32a5705f, v20
	v_sub_f32_e32 v43, v43, v37
	v_add_f32_e32 v32, v32, v45
	v_exp_f32_e32 v33, v33
	v_add_f32_e32 v40, v40, v49
	v_cvt_i32_f32_e32 v46, v46
	v_cvt_i32_f32_e32 v31, v31
	;; [unrolled: 1-line block ×3, first 2 shown]
	v_add_f32_e32 v29, v43, v29
	v_exp_f32_e32 v38, v38
	v_exp_f32_e32 v27, v27
	;; [unrolled: 1-line block ×3, first 2 shown]
	v_sub_f32_e32 v24, v24, v1
	v_cvt_i32_f32_e32 v48, v48
	v_cvt_i32_f32_e32 v50, v50
	;; [unrolled: 1-line block ×3, first 2 shown]
	v_exp_f32_e32 v39, v39
	v_exp_f32_e32 v40, v40
	;; [unrolled: 1-line block ×3, first 2 shown]
	v_mul_f32_e32 v4, 0x3fb8aa3b, v24
	v_fma_f32 v49, v24, s22, -v4
	v_rndne_f32_e32 v41, v4
	v_ldexp_f32 v33, v33, v44
	v_cmp_ngt_f32_e64 s[12:13], s23, v10
	v_fmac_f32_e32 v49, 0x32a5705f, v24
	v_sub_f32_e32 v4, v4, v41
	v_ldexp_f32 v38, v38, v46
	v_cmp_ngt_f32_e32 vcc, s23, v12
	v_ldexp_f32 v27, v27, v31
	v_ldexp_f32 v31, v32, v47
	v_cndmask_b32_e64 v32, 0, v33, s[12:13]
	v_cmp_nlt_f32_e64 s[12:13], s24, v10
	v_add_f32_e32 v4, v4, v49
	v_ldexp_f32 v39, v39, v48
	v_cmp_ngt_f32_e64 s[0:1], s23, v14
	v_ldexp_f32 v40, v40, v50
	v_cmp_ngt_f32_e64 s[2:3], s23, v16
	v_cmp_ngt_f32_e64 s[4:5], s23, v18
	v_ldexp_f32 v29, v29, v37
	v_cmp_ngt_f32_e64 s[6:7], s23, v20
	v_cmp_ngt_f32_e64 s[8:9], s23, v22
	v_cndmask_b32_e32 v33, 0, v38, vcc
	v_cmp_nlt_f32_e32 vcc, s24, v12
	v_cndmask_b32_e64 v10, v8, v32, s[12:13]
	v_cvt_i32_f32_e32 v41, v41
	v_exp_f32_e32 v4, v4
	v_cndmask_b32_e64 v12, 0, v39, s[0:1]
	v_cmp_nlt_f32_e64 s[0:1], s24, v14
	v_cndmask_b32_e64 v14, 0, v40, s[2:3]
	v_cmp_nlt_f32_e64 s[2:3], s24, v16
	;; [unrolled: 2-line block ×5, first 2 shown]
	v_cndmask_b32_e32 v22, v8, v33, vcc
	v_fmac_f32_e32 v7, v10, v11
	s_waitcnt vmcnt(7)
	v_fmac_f32_e32 v6, v3, v10
	v_cndmask_b32_e64 v12, v8, v12, s[0:1]
	v_fmac_f32_e32 v7, v22, v13
	s_waitcnt vmcnt(6)
	v_fmac_f32_e32 v6, v34, v22
	v_cndmask_b32_e64 v14, v8, v14, s[2:3]
	;; [unrolled: 4-line block ×3, first 2 shown]
	v_fmac_f32_e32 v7, v14, v17
	s_waitcnt vmcnt(4)
	v_fmac_f32_e32 v6, v36, v14
	v_ldexp_f32 v4, v4, v41
	v_cmp_ngt_f32_e64 s[10:11], s23, v24
	v_cndmask_b32_e64 v18, v8, v18, s[6:7]
	v_fmac_f32_e32 v7, v16, v19
	s_waitcnt vmcnt(2)
	v_fmac_f32_e32 v6, v42, v16
	v_cndmask_b32_e64 v4, 0, v4, s[10:11]
	v_cmp_nlt_f32_e64 s[10:11], s24, v24
	v_cndmask_b32_e64 v20, v8, v20, s[8:9]
	v_fmac_f32_e32 v7, v18, v21
	s_waitcnt vmcnt(1)
	v_fmac_f32_e32 v6, v26, v18
	s_add_i32 s25, s25, 8
	s_add_i32 s21, s21, 64
	v_cndmask_b32_e64 v4, v8, v4, s[10:11]
	v_fmac_f32_e32 v7, v20, v23
	s_waitcnt vmcnt(0)
	v_fmac_f32_e32 v6, v30, v20
	s_cmp_eq_u32 s20, s25
	v_add_u32_e32 v2, 0x400, v2
	v_fmac_f32_e32 v7, v4, v25
	v_fmac_f32_e32 v6, v28, v4
	s_cbranch_scc0 .LBB8_24
; %bb.25:
	s_and_b32 s0, s17, 7
	s_cmp_eq_u32 s0, 0
	s_cbranch_scc0 .LBB8_28
	s_branch .LBB8_30
.LBB8_26:
	s_waitcnt lgkmcnt(0)
	v_mov_b32_e32 v1, 0x7fc00000
	s_branch .LBB8_31
.LBB8_27:
	s_mov_b32 s20, 0
	v_mov_b32_e32 v7, 0
	s_and_b32 s0, s17, 7
	s_cmp_eq_u32 s0, 0
	s_cbranch_scc1 .LBB8_30
.LBB8_28:
	s_lshl_b32 s1, s20, 3
	v_lshl_or_b32 v2, s20, 7, v0
	s_add_i32 s1, s1, 0
	s_mov_b32 s2, 0x3fb8aa3b
	s_mov_b32 s3, 0xc2ce8ed0
	;; [unrolled: 1-line block ×3, first 2 shown]
	v_mov_b32_e32 v4, 0x7f800000
	v_mov_b32_e32 v3, 0
	;; [unrolled: 1-line block ×3, first 2 shown]
.LBB8_29:                               ; =>This Inner Loop Header: Depth=1
	v_lshlrev_b64 v[8:9], 2, v[2:3]
	v_add_co_u32_e32 v8, vcc, s18, v8
	v_addc_co_u32_e32 v9, vcc, v5, v9, vcc
	global_load_dword v10, v[8:9], off
	v_mov_b32_e32 v8, s1
	ds_read_b64 v[8:9], v8
	s_add_i32 s1, s1, 8
	s_add_i32 s0, s0, -1
	v_add_u32_e32 v2, 0x80, v2
	s_cmp_lg_u32 s0, 0
	s_waitcnt lgkmcnt(0)
	v_sub_f32_e32 v8, v8, v1
	v_mul_f32_e32 v11, 0x3fb8aa3b, v8
	v_fma_f32 v12, v8, s2, -v11
	v_rndne_f32_e32 v13, v11
	v_fmac_f32_e32 v12, 0x32a5705f, v8
	v_sub_f32_e32 v11, v11, v13
	v_add_f32_e32 v11, v11, v12
	v_cvt_i32_f32_e32 v13, v13
	v_exp_f32_e32 v11, v11
	v_cmp_ngt_f32_e32 vcc, s3, v8
	v_ldexp_f32 v11, v11, v13
	v_cndmask_b32_e32 v11, 0, v11, vcc
	v_cmp_nlt_f32_e32 vcc, s4, v8
	v_cndmask_b32_e32 v8, v4, v11, vcc
	v_fmac_f32_e32 v7, v8, v9
	s_waitcnt vmcnt(0)
	v_fmac_f32_e32 v6, v10, v8
	s_cbranch_scc1 .LBB8_29
.LBB8_30:
	s_waitcnt lgkmcnt(0)
	v_div_scale_f32 v1, s[0:1], v7, v7, v6
	v_rcp_f32_e32 v2, v1
	v_div_scale_f32 v3, vcc, v6, v7, v6
	v_fma_f32 v4, -v1, v2, 1.0
	v_fmac_f32_e32 v2, v4, v2
	v_mul_f32_e32 v4, v3, v2
	v_fma_f32 v5, -v1, v4, v3
	v_fmac_f32_e32 v4, v5, v2
	v_fma_f32 v1, -v1, v4, v3
	v_div_fmas_f32 v1, v1, v2, v4
	v_div_fixup_f32 v1, v1, v7, v6
.LBB8_31:
	s_lshl_b32 s0, s16, 7
	s_ashr_i32 s1, s0, 31
	s_lshl_b64 s[0:1], s[0:1], 2
	s_add_u32 s0, s14, s0
	s_addc_u32 s1, s15, s1
	v_lshlrev_b32_e32 v0, 2, v0
	global_store_dword v0, v1, s[0:1]
	s_endpgm
	.section	.rodata,"a",@progbits
	.p2align	6, 0x0
	.amdhsa_kernel _ZL26flash_attn_combine_resultsILi128EEvPKfPK15HIP_vector_typeIfLj2EEPfi
		.amdhsa_group_segment_fixed_size 0
		.amdhsa_private_segment_fixed_size 0
		.amdhsa_kernarg_size 288
		.amdhsa_user_sgpr_count 6
		.amdhsa_user_sgpr_private_segment_buffer 1
		.amdhsa_user_sgpr_dispatch_ptr 0
		.amdhsa_user_sgpr_queue_ptr 0
		.amdhsa_user_sgpr_kernarg_segment_ptr 1
		.amdhsa_user_sgpr_dispatch_id 0
		.amdhsa_user_sgpr_flat_scratch_init 0
		.amdhsa_user_sgpr_kernarg_preload_length 0
		.amdhsa_user_sgpr_kernarg_preload_offset 0
		.amdhsa_user_sgpr_private_segment_size 0
		.amdhsa_uses_dynamic_stack 0
		.amdhsa_system_sgpr_private_segment_wavefront_offset 0
		.amdhsa_system_sgpr_workgroup_id_x 1
		.amdhsa_system_sgpr_workgroup_id_y 1
		.amdhsa_system_sgpr_workgroup_id_z 1
		.amdhsa_system_sgpr_workgroup_info 0
		.amdhsa_system_vgpr_workitem_id 0
		.amdhsa_next_free_vgpr 51
		.amdhsa_next_free_sgpr 26
		.amdhsa_accum_offset 52
		.amdhsa_reserve_vcc 1
		.amdhsa_reserve_flat_scratch 0
		.amdhsa_float_round_mode_32 0
		.amdhsa_float_round_mode_16_64 0
		.amdhsa_float_denorm_mode_32 3
		.amdhsa_float_denorm_mode_16_64 3
		.amdhsa_dx10_clamp 1
		.amdhsa_ieee_mode 1
		.amdhsa_fp16_overflow 0
		.amdhsa_tg_split 0
		.amdhsa_exception_fp_ieee_invalid_op 0
		.amdhsa_exception_fp_denorm_src 0
		.amdhsa_exception_fp_ieee_div_zero 0
		.amdhsa_exception_fp_ieee_overflow 0
		.amdhsa_exception_fp_ieee_underflow 0
		.amdhsa_exception_fp_ieee_inexact 0
		.amdhsa_exception_int_div_zero 0
	.end_amdhsa_kernel
	.section	.text._ZL26flash_attn_combine_resultsILi128EEvPKfPK15HIP_vector_typeIfLj2EEPfi,"axG",@progbits,_ZL26flash_attn_combine_resultsILi128EEvPKfPK15HIP_vector_typeIfLj2EEPfi,comdat
.Lfunc_end8:
	.size	_ZL26flash_attn_combine_resultsILi128EEvPKfPK15HIP_vector_typeIfLj2EEPfi, .Lfunc_end8-_ZL26flash_attn_combine_resultsILi128EEvPKfPK15HIP_vector_typeIfLj2EEPfi
                                        ; -- End function
	.section	.AMDGPU.csdata,"",@progbits
; Kernel info:
; codeLenInByte = 3048
; NumSgprs: 30
; NumVgprs: 51
; NumAgprs: 0
; TotalNumVgprs: 51
; ScratchSize: 0
; MemoryBound: 0
; FloatMode: 240
; IeeeMode: 1
; LDSByteSize: 0 bytes/workgroup (compile time only)
; SGPRBlocks: 3
; VGPRBlocks: 6
; NumSGPRsForWavesPerEU: 30
; NumVGPRsForWavesPerEU: 51
; AccumOffset: 52
; Occupancy: 8
; WaveLimiterHint : 0
; COMPUTE_PGM_RSRC2:SCRATCH_EN: 0
; COMPUTE_PGM_RSRC2:USER_SGPR: 6
; COMPUTE_PGM_RSRC2:TRAP_HANDLER: 0
; COMPUTE_PGM_RSRC2:TGID_X_EN: 1
; COMPUTE_PGM_RSRC2:TGID_Y_EN: 1
; COMPUTE_PGM_RSRC2:TGID_Z_EN: 1
; COMPUTE_PGM_RSRC2:TIDIG_COMP_CNT: 0
; COMPUTE_PGM_RSRC3_GFX90A:ACCUM_OFFSET: 12
; COMPUTE_PGM_RSRC3_GFX90A:TG_SPLIT: 0
	.section	.text._ZL18flash_attn_ext_f16ILi576ELi512ELi2ELi16ELb0ELb1EEvPKcS1_S1_S1_S1_PKiPfP15HIP_vector_typeIfLj2EEffffjfiS5_IjLj3EEiiiiiiiiiiiliiliiiiil,"axG",@progbits,_ZL18flash_attn_ext_f16ILi576ELi512ELi2ELi16ELb0ELb1EEvPKcS1_S1_S1_S1_PKiPfP15HIP_vector_typeIfLj2EEffffjfiS5_IjLj3EEiiiiiiiiiiiliiliiiiil,comdat
	.globl	_ZL18flash_attn_ext_f16ILi576ELi512ELi2ELi16ELb0ELb1EEvPKcS1_S1_S1_S1_PKiPfP15HIP_vector_typeIfLj2EEffffjfiS5_IjLj3EEiiiiiiiiiiiliiliiiiil ; -- Begin function _ZL18flash_attn_ext_f16ILi576ELi512ELi2ELi16ELb0ELb1EEvPKcS1_S1_S1_S1_PKiPfP15HIP_vector_typeIfLj2EEffffjfiS5_IjLj3EEiiiiiiiiiiiliiliiiiil
	.p2align	8
	.type	_ZL18flash_attn_ext_f16ILi576ELi512ELi2ELi16ELb0ELb1EEvPKcS1_S1_S1_S1_PKiPfP15HIP_vector_typeIfLj2EEffffjfiS5_IjLj3EEiiiiiiiiiiiliiliiiiil,@function
_ZL18flash_attn_ext_f16ILi576ELi512ELi2ELi16ELb0ELb1EEvPKcS1_S1_S1_S1_PKiPfP15HIP_vector_typeIfLj2EEffffjfiS5_IjLj3EEiiiiiiiiiiiliiliiiiil: ; @_ZL18flash_attn_ext_f16ILi576ELi512ELi2ELi16ELb0ELb1EEvPKcS1_S1_S1_S1_PKiPfP15HIP_vector_typeIfLj2EEffffjfiS5_IjLj3EEiiiiiiiiiiiliiliiiiil
; %bb.0:
	s_add_u32 flat_scratch_lo, s6, s9
	s_addc_u32 flat_scratch_hi, s7, 0
	s_add_u32 s0, s0, s9
	s_addc_u32 s1, s1, 0
	s_add_u32 s8, s4, 0xd0
	s_addc_u32 s9, s5, 0
	v_mov_b32_e32 v0, 0x6ea
	s_mov_b32 s32, 0
	s_getpc_b64 s[4:5]
	s_add_u32 s4, s4, _ZL14no_device_codePKciS0_iS0_@rel32@lo+4
	s_addc_u32 s5, s5, _ZL14no_device_codePKciS0_iS0_@rel32@hi+12
	s_swappc_b64 s[30:31], s[4:5]
	.section	.rodata,"a",@progbits
	.p2align	6, 0x0
	.amdhsa_kernel _ZL18flash_attn_ext_f16ILi576ELi512ELi2ELi16ELb0ELb1EEvPKcS1_S1_S1_S1_PKiPfP15HIP_vector_typeIfLj2EEffffjfiS5_IjLj3EEiiiiiiiiiiiliiliiiiil
		.amdhsa_group_segment_fixed_size 0
		.amdhsa_private_segment_fixed_size 16
		.amdhsa_kernarg_size 464
		.amdhsa_user_sgpr_count 8
		.amdhsa_user_sgpr_private_segment_buffer 1
		.amdhsa_user_sgpr_dispatch_ptr 0
		.amdhsa_user_sgpr_queue_ptr 0
		.amdhsa_user_sgpr_kernarg_segment_ptr 1
		.amdhsa_user_sgpr_dispatch_id 0
		.amdhsa_user_sgpr_flat_scratch_init 1
		.amdhsa_user_sgpr_kernarg_preload_length 0
		.amdhsa_user_sgpr_kernarg_preload_offset 0
		.amdhsa_user_sgpr_private_segment_size 0
		.amdhsa_uses_dynamic_stack 0
		.amdhsa_system_sgpr_private_segment_wavefront_offset 1
		.amdhsa_system_sgpr_workgroup_id_x 1
		.amdhsa_system_sgpr_workgroup_id_y 0
		.amdhsa_system_sgpr_workgroup_id_z 0
		.amdhsa_system_sgpr_workgroup_info 0
		.amdhsa_system_vgpr_workitem_id 0
		.amdhsa_next_free_vgpr 39
		.amdhsa_next_free_sgpr 34
		.amdhsa_accum_offset 40
		.amdhsa_reserve_vcc 1
		.amdhsa_reserve_flat_scratch 1
		.amdhsa_float_round_mode_32 0
		.amdhsa_float_round_mode_16_64 0
		.amdhsa_float_denorm_mode_32 3
		.amdhsa_float_denorm_mode_16_64 3
		.amdhsa_dx10_clamp 1
		.amdhsa_ieee_mode 1
		.amdhsa_fp16_overflow 0
		.amdhsa_tg_split 0
		.amdhsa_exception_fp_ieee_invalid_op 0
		.amdhsa_exception_fp_denorm_src 0
		.amdhsa_exception_fp_ieee_div_zero 0
		.amdhsa_exception_fp_ieee_overflow 0
		.amdhsa_exception_fp_ieee_underflow 0
		.amdhsa_exception_fp_ieee_inexact 0
		.amdhsa_exception_int_div_zero 0
	.end_amdhsa_kernel
	.section	.text._ZL18flash_attn_ext_f16ILi576ELi512ELi2ELi16ELb0ELb1EEvPKcS1_S1_S1_S1_PKiPfP15HIP_vector_typeIfLj2EEffffjfiS5_IjLj3EEiiiiiiiiiiiliiliiiiil,"axG",@progbits,_ZL18flash_attn_ext_f16ILi576ELi512ELi2ELi16ELb0ELb1EEvPKcS1_S1_S1_S1_PKiPfP15HIP_vector_typeIfLj2EEffffjfiS5_IjLj3EEiiiiiiiiiiiliiliiiiil,comdat
.Lfunc_end9:
	.size	_ZL18flash_attn_ext_f16ILi576ELi512ELi2ELi16ELb0ELb1EEvPKcS1_S1_S1_S1_PKiPfP15HIP_vector_typeIfLj2EEffffjfiS5_IjLj3EEiiiiiiiiiiiliiliiiiil, .Lfunc_end9-_ZL18flash_attn_ext_f16ILi576ELi512ELi2ELi16ELb0ELb1EEvPKcS1_S1_S1_S1_PKiPfP15HIP_vector_typeIfLj2EEffffjfiS5_IjLj3EEiiiiiiiiiiiliiliiiiil
                                        ; -- End function
	.section	.AMDGPU.csdata,"",@progbits
; Kernel info:
; codeLenInByte = 64
; NumSgprs: 40
; NumVgprs: 39
; NumAgprs: 0
; TotalNumVgprs: 39
; ScratchSize: 16
; MemoryBound: 0
; FloatMode: 240
; IeeeMode: 1
; LDSByteSize: 0 bytes/workgroup (compile time only)
; SGPRBlocks: 4
; VGPRBlocks: 4
; NumSGPRsForWavesPerEU: 40
; NumVGPRsForWavesPerEU: 39
; AccumOffset: 40
; Occupancy: 8
; WaveLimiterHint : 1
; COMPUTE_PGM_RSRC2:SCRATCH_EN: 1
; COMPUTE_PGM_RSRC2:USER_SGPR: 8
; COMPUTE_PGM_RSRC2:TRAP_HANDLER: 0
; COMPUTE_PGM_RSRC2:TGID_X_EN: 1
; COMPUTE_PGM_RSRC2:TGID_Y_EN: 0
; COMPUTE_PGM_RSRC2:TGID_Z_EN: 0
; COMPUTE_PGM_RSRC2:TIDIG_COMP_CNT: 0
; COMPUTE_PGM_RSRC3_GFX90A:ACCUM_OFFSET: 9
; COMPUTE_PGM_RSRC3_GFX90A:TG_SPLIT: 0
	.section	.text._ZL18flash_attn_ext_f16ILi576ELi512ELi2ELi16ELb1ELb1EEvPKcS1_S1_S1_S1_PKiPfP15HIP_vector_typeIfLj2EEffffjfiS5_IjLj3EEiiiiiiiiiiiliiliiiiil,"axG",@progbits,_ZL18flash_attn_ext_f16ILi576ELi512ELi2ELi16ELb1ELb1EEvPKcS1_S1_S1_S1_PKiPfP15HIP_vector_typeIfLj2EEffffjfiS5_IjLj3EEiiiiiiiiiiiliiliiiiil,comdat
	.globl	_ZL18flash_attn_ext_f16ILi576ELi512ELi2ELi16ELb1ELb1EEvPKcS1_S1_S1_S1_PKiPfP15HIP_vector_typeIfLj2EEffffjfiS5_IjLj3EEiiiiiiiiiiiliiliiiiil ; -- Begin function _ZL18flash_attn_ext_f16ILi576ELi512ELi2ELi16ELb1ELb1EEvPKcS1_S1_S1_S1_PKiPfP15HIP_vector_typeIfLj2EEffffjfiS5_IjLj3EEiiiiiiiiiiiliiliiiiil
	.p2align	8
	.type	_ZL18flash_attn_ext_f16ILi576ELi512ELi2ELi16ELb1ELb1EEvPKcS1_S1_S1_S1_PKiPfP15HIP_vector_typeIfLj2EEffffjfiS5_IjLj3EEiiiiiiiiiiiliiliiiiil,@function
_ZL18flash_attn_ext_f16ILi576ELi512ELi2ELi16ELb1ELb1EEvPKcS1_S1_S1_S1_PKiPfP15HIP_vector_typeIfLj2EEffffjfiS5_IjLj3EEiiiiiiiiiiiliiliiiiil: ; @_ZL18flash_attn_ext_f16ILi576ELi512ELi2ELi16ELb1ELb1EEvPKcS1_S1_S1_S1_PKiPfP15HIP_vector_typeIfLj2EEffffjfiS5_IjLj3EEiiiiiiiiiiiliiliiiiil
; %bb.0:
	s_add_u32 flat_scratch_lo, s6, s9
	s_addc_u32 flat_scratch_hi, s7, 0
	s_add_u32 s0, s0, s9
	s_addc_u32 s1, s1, 0
	s_add_u32 s8, s4, 0xd0
	s_addc_u32 s9, s5, 0
	v_mov_b32_e32 v0, 0x6cc
	s_mov_b32 s32, 0
	s_getpc_b64 s[4:5]
	s_add_u32 s4, s4, _ZL14no_device_codePKciS0_iS0_@rel32@lo+4
	s_addc_u32 s5, s5, _ZL14no_device_codePKciS0_iS0_@rel32@hi+12
	s_swappc_b64 s[30:31], s[4:5]
	.section	.rodata,"a",@progbits
	.p2align	6, 0x0
	.amdhsa_kernel _ZL18flash_attn_ext_f16ILi576ELi512ELi2ELi16ELb1ELb1EEvPKcS1_S1_S1_S1_PKiPfP15HIP_vector_typeIfLj2EEffffjfiS5_IjLj3EEiiiiiiiiiiiliiliiiiil
		.amdhsa_group_segment_fixed_size 0
		.amdhsa_private_segment_fixed_size 16
		.amdhsa_kernarg_size 464
		.amdhsa_user_sgpr_count 8
		.amdhsa_user_sgpr_private_segment_buffer 1
		.amdhsa_user_sgpr_dispatch_ptr 0
		.amdhsa_user_sgpr_queue_ptr 0
		.amdhsa_user_sgpr_kernarg_segment_ptr 1
		.amdhsa_user_sgpr_dispatch_id 0
		.amdhsa_user_sgpr_flat_scratch_init 1
		.amdhsa_user_sgpr_kernarg_preload_length 0
		.amdhsa_user_sgpr_kernarg_preload_offset 0
		.amdhsa_user_sgpr_private_segment_size 0
		.amdhsa_uses_dynamic_stack 0
		.amdhsa_system_sgpr_private_segment_wavefront_offset 1
		.amdhsa_system_sgpr_workgroup_id_x 1
		.amdhsa_system_sgpr_workgroup_id_y 0
		.amdhsa_system_sgpr_workgroup_id_z 0
		.amdhsa_system_sgpr_workgroup_info 0
		.amdhsa_system_vgpr_workitem_id 0
		.amdhsa_next_free_vgpr 39
		.amdhsa_next_free_sgpr 34
		.amdhsa_accum_offset 40
		.amdhsa_reserve_vcc 1
		.amdhsa_reserve_flat_scratch 1
		.amdhsa_float_round_mode_32 0
		.amdhsa_float_round_mode_16_64 0
		.amdhsa_float_denorm_mode_32 3
		.amdhsa_float_denorm_mode_16_64 3
		.amdhsa_dx10_clamp 1
		.amdhsa_ieee_mode 1
		.amdhsa_fp16_overflow 0
		.amdhsa_tg_split 0
		.amdhsa_exception_fp_ieee_invalid_op 0
		.amdhsa_exception_fp_denorm_src 0
		.amdhsa_exception_fp_ieee_div_zero 0
		.amdhsa_exception_fp_ieee_overflow 0
		.amdhsa_exception_fp_ieee_underflow 0
		.amdhsa_exception_fp_ieee_inexact 0
		.amdhsa_exception_int_div_zero 0
	.end_amdhsa_kernel
	.section	.text._ZL18flash_attn_ext_f16ILi576ELi512ELi2ELi16ELb1ELb1EEvPKcS1_S1_S1_S1_PKiPfP15HIP_vector_typeIfLj2EEffffjfiS5_IjLj3EEiiiiiiiiiiiliiliiiiil,"axG",@progbits,_ZL18flash_attn_ext_f16ILi576ELi512ELi2ELi16ELb1ELb1EEvPKcS1_S1_S1_S1_PKiPfP15HIP_vector_typeIfLj2EEffffjfiS5_IjLj3EEiiiiiiiiiiiliiliiiiil,comdat
.Lfunc_end10:
	.size	_ZL18flash_attn_ext_f16ILi576ELi512ELi2ELi16ELb1ELb1EEvPKcS1_S1_S1_S1_PKiPfP15HIP_vector_typeIfLj2EEffffjfiS5_IjLj3EEiiiiiiiiiiiliiliiiiil, .Lfunc_end10-_ZL18flash_attn_ext_f16ILi576ELi512ELi2ELi16ELb1ELb1EEvPKcS1_S1_S1_S1_PKiPfP15HIP_vector_typeIfLj2EEffffjfiS5_IjLj3EEiiiiiiiiiiiliiliiiiil
                                        ; -- End function
	.section	.AMDGPU.csdata,"",@progbits
; Kernel info:
; codeLenInByte = 64
; NumSgprs: 40
; NumVgprs: 39
; NumAgprs: 0
; TotalNumVgprs: 39
; ScratchSize: 16
; MemoryBound: 0
; FloatMode: 240
; IeeeMode: 1
; LDSByteSize: 0 bytes/workgroup (compile time only)
; SGPRBlocks: 4
; VGPRBlocks: 4
; NumSGPRsForWavesPerEU: 40
; NumVGPRsForWavesPerEU: 39
; AccumOffset: 40
; Occupancy: 8
; WaveLimiterHint : 1
; COMPUTE_PGM_RSRC2:SCRATCH_EN: 1
; COMPUTE_PGM_RSRC2:USER_SGPR: 8
; COMPUTE_PGM_RSRC2:TRAP_HANDLER: 0
; COMPUTE_PGM_RSRC2:TGID_X_EN: 1
; COMPUTE_PGM_RSRC2:TGID_Y_EN: 0
; COMPUTE_PGM_RSRC2:TGID_Z_EN: 0
; COMPUTE_PGM_RSRC2:TIDIG_COMP_CNT: 0
; COMPUTE_PGM_RSRC3_GFX90A:ACCUM_OFFSET: 9
; COMPUTE_PGM_RSRC3_GFX90A:TG_SPLIT: 0
	.section	.text._ZL33flash_attn_stream_k_fixup_uniformILi512ELi2ELi16EEvPfPK15HIP_vector_typeIfLj2EEiiiiiiS1_IjLj3EES5_S5_,"axG",@progbits,_ZL33flash_attn_stream_k_fixup_uniformILi512ELi2ELi16EEvPfPK15HIP_vector_typeIfLj2EEiiiiiiS1_IjLj3EES5_S5_,comdat
	.globl	_ZL33flash_attn_stream_k_fixup_uniformILi512ELi2ELi16EEvPfPK15HIP_vector_typeIfLj2EEiiiiiiS1_IjLj3EES5_S5_ ; -- Begin function _ZL33flash_attn_stream_k_fixup_uniformILi512ELi2ELi16EEvPfPK15HIP_vector_typeIfLj2EEiiiiiiS1_IjLj3EES5_S5_
	.p2align	8
	.type	_ZL33flash_attn_stream_k_fixup_uniformILi512ELi2ELi16EEvPfPK15HIP_vector_typeIfLj2EEiiiiiiS1_IjLj3EES5_S5_,@function
_ZL33flash_attn_stream_k_fixup_uniformILi512ELi2ELi16EEvPfPK15HIP_vector_typeIfLj2EEiiiiiiS1_IjLj3EES5_S5_: ; @_ZL33flash_attn_stream_k_fixup_uniformILi512ELi2ELi16EEvPfPK15HIP_vector_typeIfLj2EEiiiiiiS1_IjLj3EES5_S5_
; %bb.0:
	s_load_dwordx8 s[12:19], s[4:5], 0x1c
	s_load_dwordx2 s[10:11], s[4:5], 0x10
	s_load_dwordx4 s[0:3], s[4:5], 0x3c
	s_waitcnt lgkmcnt(0)
	s_mul_hi_u32 s9, s15, s6
	s_add_i32 s9, s6, s9
	s_lshr_b32 s9, s9, s16
	s_mul_i32 s15, s9, s17
	s_sub_i32 s15, s6, s15
	s_mul_hi_u32 s16, s15, s18
	s_add_i32 s16, s15, s16
	s_lshr_b32 s16, s16, s19
	s_mul_i32 s0, s16, s0
	s_sub_i32 s0, s15, s0
	;; [unrolled: 5-line block ×3, first 2 shown]
	s_lshl_b32 s0, s17, 1
	s_lshl_b32 s15, s1, 4
	s_add_i32 s0, s0, s7
	s_cmp_lt_i32 s0, s10
	s_cselect_b64 s[0:1], -1, 0
	s_add_i32 s2, s15, s8
	s_cmp_lt_i32 s2, s13
	s_cselect_b64 s[2:3], -1, 0
	s_and_b64 s[0:1], s[0:1], s[2:3]
	s_andn2_b64 vcc, exec, s[0:1]
	s_cbranch_vccnz .LBB11_6
; %bb.1:
	s_load_dwordx4 s[0:3], s[4:5], 0x0
	s_mul_i32 s4, s9, s10
	s_add_i32 s4, s4, s7
	s_mul_i32 s4, s4, s11
	s_mul_i32 s16, s16, s13
	s_add_i32 s4, s4, s8
	s_add_i32 s4, s4, s16
	s_mul_i32 s5, s11, s17
	s_add_i32 s4, s4, s15
	s_lshl_b32 s5, s5, 10
	s_lshl_b32 s4, s4, 9
	s_add_i32 s5, s5, s4
	v_or_b32_e32 v2, s5, v0
	v_ashrrev_i32_e32 v3, 31, v2
	v_lshlrev_b64 v[2:3], 2, v[2:3]
	s_waitcnt lgkmcnt(0)
	v_mov_b32_e32 v1, s1
	v_add_co_u32_e32 v2, vcc, s0, v2
	v_addc_co_u32_e32 v3, vcc, v1, v3, vcc
	global_load_dword v8, v[2:3], off
	s_mul_i32 s9, s6, s14
	s_lshl_b32 s4, s7, 4
	s_add_i32 s11, s9, s14
	s_add_i32 s0, s4, s8
	s_lshl_b32 s1, s11, 5
	s_add_i32 s0, s0, s1
	s_sub_i32 s0, s0, 32
	s_ashr_i32 s1, s0, 31
	s_lshl_b64 s[0:1], s[0:1], 3
	s_add_u32 s0, s2, s0
	s_addc_u32 s1, s3, s1
	s_load_dword s5, s[0:1], 0x4
	s_add_i32 s10, s11, -2
	s_cmp_lt_i32 s10, s9
	s_cbranch_scc1 .LBB11_4
; %bb.2:
	s_lshl_b32 s16, s12, 7
	s_ashr_i32 s17, s16, 31
	s_lshl_b64 s[16:17], s[16:17], 2
	s_add_u32 s10, s2, s16
	s_addc_u32 s13, s3, s17
	s_add_i32 s6, s6, 1
	s_load_dword s0, s[0:1], 0x0
	s_mul_i32 s1, s14, s6
	s_lshl_b32 s7, s7, 13
	s_lshl_b32 s14, s8, 9
	;; [unrolled: 1-line block ×3, first 2 shown]
	s_add_i32 s7, s14, s7
	s_lshl_b32 s1, s1, 5
	s_add_i32 s7, s7, s6
	s_add_i32 s1, s8, s1
	s_lshl_b32 s6, s12, 5
	s_add_i32 s1, s1, s6
	v_or_b32_e32 v0, s7, v0
	s_add_i32 s1, s1, s4
	s_add_i32 s11, s11, -1
	v_add_u32_e32 v0, 0xffff8000, v0
	s_sub_i32 s4, s1, 64
	s_waitcnt lgkmcnt(0)
	v_mov_b32_e32 v7, s5
	v_mov_b32_e32 v6, s0
	;; [unrolled: 1-line block ×3, first 2 shown]
	s_mov_b32 s6, 0x3fb8aa3b
	s_mov_b32 s7, 0xc2ce8ed0
	;; [unrolled: 1-line block ×3, first 2 shown]
	v_mov_b32_e32 v5, 0x7f800000
	s_mov_b32 s12, 0xc1a00000
.LBB11_3:                               ; =>This Inner Loop Header: Depth=1
	v_ashrrev_i32_e32 v1, 31, v0
	v_lshlrev_b64 v[10:11], 2, v[0:1]
	v_add_co_u32_e32 v10, vcc, s10, v10
	v_addc_co_u32_e32 v11, vcc, v4, v11, vcc
	global_load_dword v1, v[10:11], off
	s_ashr_i32 s5, s4, 31
	s_lshl_b64 s[0:1], s[4:5], 3
	s_add_u32 s0, s2, s0
	s_addc_u32 s1, s3, s1
	s_load_dwordx2 s[14:15], s[0:1], 0x0
	s_waitcnt vmcnt(1)
	v_mov_b32_e32 v9, v8
	v_max_f32_e32 v8, v6, v6
	v_mov_b32_e32 v10, v7
	s_add_i32 s11, s11, -1
	s_waitcnt lgkmcnt(0)
	v_max_f32_e64 v7, s14, s14
	v_max_f32_e32 v7, v8, v7
	v_sub_f32_e32 v11, s14, v7
	v_sub_f32_e32 v8, v6, v7
	v_mul_f32_e32 v12, 0x3fb8aa3b, v11
	v_mov_b32_e32 v6, v7
	v_mul_f32_e32 v7, 0x3fb8aa3b, v8
	v_fma_f32 v15, v11, s6, -v12
	v_rndne_f32_e32 v16, v12
	v_fma_f32 v13, v8, s6, -v7
	v_rndne_f32_e32 v14, v7
	v_fmac_f32_e32 v15, 0x32a5705f, v11
	v_sub_f32_e32 v12, v12, v16
	v_fmac_f32_e32 v13, 0x32a5705f, v8
	v_sub_f32_e32 v7, v7, v14
	v_add_f32_e32 v12, v12, v15
	v_cvt_i32_f32_e32 v16, v16
	v_add_f32_e32 v7, v7, v13
	v_exp_f32_e32 v12, v12
	v_cvt_i32_f32_e32 v14, v14
	v_exp_f32_e32 v7, v7
	v_cmp_ngt_f32_e32 vcc, s7, v11
	v_ldexp_f32 v12, v12, v16
	v_cmp_ngt_f32_e64 s[0:1], s7, v8
	v_ldexp_f32 v7, v7, v14
	v_cndmask_b32_e32 v12, 0, v12, vcc
	v_cmp_nlt_f32_e32 vcc, s8, v11
	v_cndmask_b32_e64 v7, 0, v7, s[0:1]
	v_cmp_nlt_f32_e64 s[0:1], s8, v8
	v_cndmask_b32_e32 v12, v5, v12, vcc
	v_cmp_le_f32_e32 vcc, s12, v11
	v_cndmask_b32_e64 v7, v5, v7, s[0:1]
	v_cmp_le_f32_e64 s[0:1], s12, v8
	v_cndmask_b32_e32 v8, 0, v12, vcc
	s_sub_i32 s4, s4, 32
	v_cndmask_b32_e64 v11, 0, v7, s[0:1]
	v_mul_f32_e32 v7, s15, v8
	v_add_u32_e32 v0, 0xffffc000, v0
	s_cmp_le_i32 s11, s9
	v_fmac_f32_e32 v7, v10, v11
	s_waitcnt vmcnt(0)
	v_mul_f32_e32 v8, v1, v8
	v_fmac_f32_e32 v8, v9, v11
	s_cbranch_scc0 .LBB11_3
	s_branch .LBB11_5
.LBB11_4:
	s_waitcnt lgkmcnt(0)
	v_mov_b32_e32 v7, s5
.LBB11_5:
	s_waitcnt vmcnt(0)
	v_div_scale_f32 v0, s[0:1], v7, v7, v8
	v_rcp_f32_e32 v1, v0
	v_div_scale_f32 v4, vcc, v8, v7, v8
	v_fma_f32 v5, -v0, v1, 1.0
	v_fmac_f32_e32 v1, v5, v1
	v_mul_f32_e32 v5, v4, v1
	v_fma_f32 v6, -v0, v5, v4
	v_fmac_f32_e32 v5, v6, v1
	v_fma_f32 v0, -v0, v5, v4
	v_div_fmas_f32 v0, v0, v1, v5
	v_div_fixup_f32 v0, v0, v7, v8
	global_store_dword v[2:3], v0, off
.LBB11_6:
	s_endpgm
	.section	.rodata,"a",@progbits
	.p2align	6, 0x0
	.amdhsa_kernel _ZL33flash_attn_stream_k_fixup_uniformILi512ELi2ELi16EEvPfPK15HIP_vector_typeIfLj2EEiiiiiiS1_IjLj3EES5_S5_
		.amdhsa_group_segment_fixed_size 0
		.amdhsa_private_segment_fixed_size 0
		.amdhsa_kernarg_size 76
		.amdhsa_user_sgpr_count 6
		.amdhsa_user_sgpr_private_segment_buffer 1
		.amdhsa_user_sgpr_dispatch_ptr 0
		.amdhsa_user_sgpr_queue_ptr 0
		.amdhsa_user_sgpr_kernarg_segment_ptr 1
		.amdhsa_user_sgpr_dispatch_id 0
		.amdhsa_user_sgpr_flat_scratch_init 0
		.amdhsa_user_sgpr_kernarg_preload_length 0
		.amdhsa_user_sgpr_kernarg_preload_offset 0
		.amdhsa_user_sgpr_private_segment_size 0
		.amdhsa_uses_dynamic_stack 0
		.amdhsa_system_sgpr_private_segment_wavefront_offset 0
		.amdhsa_system_sgpr_workgroup_id_x 1
		.amdhsa_system_sgpr_workgroup_id_y 1
		.amdhsa_system_sgpr_workgroup_id_z 1
		.amdhsa_system_sgpr_workgroup_info 0
		.amdhsa_system_vgpr_workitem_id 0
		.amdhsa_next_free_vgpr 17
		.amdhsa_next_free_sgpr 20
		.amdhsa_accum_offset 20
		.amdhsa_reserve_vcc 1
		.amdhsa_reserve_flat_scratch 0
		.amdhsa_float_round_mode_32 0
		.amdhsa_float_round_mode_16_64 0
		.amdhsa_float_denorm_mode_32 3
		.amdhsa_float_denorm_mode_16_64 3
		.amdhsa_dx10_clamp 1
		.amdhsa_ieee_mode 1
		.amdhsa_fp16_overflow 0
		.amdhsa_tg_split 0
		.amdhsa_exception_fp_ieee_invalid_op 0
		.amdhsa_exception_fp_denorm_src 0
		.amdhsa_exception_fp_ieee_div_zero 0
		.amdhsa_exception_fp_ieee_overflow 0
		.amdhsa_exception_fp_ieee_underflow 0
		.amdhsa_exception_fp_ieee_inexact 0
		.amdhsa_exception_int_div_zero 0
	.end_amdhsa_kernel
	.section	.text._ZL33flash_attn_stream_k_fixup_uniformILi512ELi2ELi16EEvPfPK15HIP_vector_typeIfLj2EEiiiiiiS1_IjLj3EES5_S5_,"axG",@progbits,_ZL33flash_attn_stream_k_fixup_uniformILi512ELi2ELi16EEvPfPK15HIP_vector_typeIfLj2EEiiiiiiS1_IjLj3EES5_S5_,comdat
.Lfunc_end11:
	.size	_ZL33flash_attn_stream_k_fixup_uniformILi512ELi2ELi16EEvPfPK15HIP_vector_typeIfLj2EEiiiiiiS1_IjLj3EES5_S5_, .Lfunc_end11-_ZL33flash_attn_stream_k_fixup_uniformILi512ELi2ELi16EEvPfPK15HIP_vector_typeIfLj2EEiiiiiiS1_IjLj3EES5_S5_
                                        ; -- End function
	.section	.AMDGPU.csdata,"",@progbits
; Kernel info:
; codeLenInByte = 856
; NumSgprs: 24
; NumVgprs: 17
; NumAgprs: 0
; TotalNumVgprs: 17
; ScratchSize: 0
; MemoryBound: 0
; FloatMode: 240
; IeeeMode: 1
; LDSByteSize: 0 bytes/workgroup (compile time only)
; SGPRBlocks: 2
; VGPRBlocks: 2
; NumSGPRsForWavesPerEU: 24
; NumVGPRsForWavesPerEU: 17
; AccumOffset: 20
; Occupancy: 8
; WaveLimiterHint : 0
; COMPUTE_PGM_RSRC2:SCRATCH_EN: 0
; COMPUTE_PGM_RSRC2:USER_SGPR: 6
; COMPUTE_PGM_RSRC2:TRAP_HANDLER: 0
; COMPUTE_PGM_RSRC2:TGID_X_EN: 1
; COMPUTE_PGM_RSRC2:TGID_Y_EN: 1
; COMPUTE_PGM_RSRC2:TGID_Z_EN: 1
; COMPUTE_PGM_RSRC2:TIDIG_COMP_CNT: 0
; COMPUTE_PGM_RSRC3_GFX90A:ACCUM_OFFSET: 4
; COMPUTE_PGM_RSRC3_GFX90A:TG_SPLIT: 0
	.section	.text._ZL33flash_attn_stream_k_fixup_generalILi512ELi2ELi16EEvPfPK15HIP_vector_typeIfLj2EEiiiiS1_IjLj3EES5_S5_S5_,"axG",@progbits,_ZL33flash_attn_stream_k_fixup_generalILi512ELi2ELi16EEvPfPK15HIP_vector_typeIfLj2EEiiiiS1_IjLj3EES5_S5_S5_,comdat
	.globl	_ZL33flash_attn_stream_k_fixup_generalILi512ELi2ELi16EEvPfPK15HIP_vector_typeIfLj2EEiiiiS1_IjLj3EES5_S5_S5_ ; -- Begin function _ZL33flash_attn_stream_k_fixup_generalILi512ELi2ELi16EEvPfPK15HIP_vector_typeIfLj2EEiiiiS1_IjLj3EES5_S5_S5_
	.p2align	8
	.type	_ZL33flash_attn_stream_k_fixup_generalILi512ELi2ELi16EEvPfPK15HIP_vector_typeIfLj2EEiiiiS1_IjLj3EES5_S5_S5_,@function
_ZL33flash_attn_stream_k_fixup_generalILi512ELi2ELi16EEvPfPK15HIP_vector_typeIfLj2EEiiiiS1_IjLj3EES5_S5_S5_: ; @_ZL33flash_attn_stream_k_fixup_generalILi512ELi2ELi16EEvPfPK15HIP_vector_typeIfLj2EEiiiiS1_IjLj3EES5_S5_S5_
; %bb.0:
	s_load_dwordx4 s[12:15], s[4:5], 0x10
	s_load_dword s9, s[4:5], 0x50
	s_mov_b32 s2, 0
	s_waitcnt lgkmcnt(0)
	s_mul_hi_i32 s3, s15, s6
	s_cmp_lg_u64 s[2:3], 0
	s_mul_i32 s2, s15, s6
	s_cbranch_scc0 .LBB12_21
; %bb.1:
	v_cvt_f32_u32_e32 v1, s9
	v_cvt_f32_ubyte0_e32 v2, 0
	s_sub_u32 s10, 0, s9
	s_subb_u32 s11, 0, 0
	v_madmk_f32 v1, v2, 0x4f800000, v1
	v_rcp_f32_e32 v1, v1
	v_mul_f32_e32 v1, 0x5f7ffffc, v1
	v_mul_f32_e32 v2, 0x2f800000, v1
	v_trunc_f32_e32 v2, v2
	v_madmk_f32 v1, v2, 0xcf800000, v1
	v_cvt_u32_f32_e32 v2, v2
	v_cvt_u32_f32_e32 v1, v1
	v_readfirstlane_b32 s16, v2
	v_readfirstlane_b32 s17, v1
	s_mul_i32 s18, s10, s16
	s_mul_hi_u32 s20, s10, s17
	s_mul_i32 s19, s11, s17
	s_add_i32 s18, s20, s18
	s_add_i32 s18, s18, s19
	s_mul_i32 s21, s10, s17
	s_mul_hi_u32 s19, s17, s18
	s_mul_i32 s20, s17, s18
	s_mul_hi_u32 s17, s17, s21
	s_add_u32 s17, s17, s20
	s_addc_u32 s19, 0, s19
	s_mul_hi_u32 s22, s16, s21
	s_mul_i32 s21, s16, s21
	s_add_u32 s17, s17, s21
	s_mul_hi_u32 s20, s16, s18
	s_addc_u32 s17, s19, s22
	s_addc_u32 s19, s20, 0
	s_mul_i32 s18, s16, s18
	s_add_u32 s17, s17, s18
	s_addc_u32 s18, 0, s19
	v_add_co_u32_e32 v1, vcc, s17, v1
	s_cmp_lg_u64 vcc, 0
	s_addc_u32 s16, s16, s18
	v_readfirstlane_b32 s18, v1
	s_mul_i32 s17, s10, s16
	s_mul_hi_u32 s19, s10, s18
	s_add_i32 s17, s19, s17
	s_mul_i32 s11, s11, s18
	s_add_i32 s17, s17, s11
	s_mul_i32 s10, s10, s18
	s_mul_hi_u32 s19, s16, s10
	s_mul_i32 s20, s16, s10
	s_mul_i32 s22, s18, s17
	s_mul_hi_u32 s10, s18, s10
	s_mul_hi_u32 s21, s18, s17
	s_add_u32 s10, s10, s22
	s_addc_u32 s18, 0, s21
	s_add_u32 s10, s10, s20
	s_mul_hi_u32 s11, s16, s17
	s_addc_u32 s10, s18, s19
	s_addc_u32 s11, s11, 0
	s_mul_i32 s17, s16, s17
	s_add_u32 s10, s10, s17
	s_addc_u32 s11, 0, s11
	v_add_co_u32_e32 v1, vcc, s10, v1
	s_cmp_lg_u64 vcc, 0
	s_addc_u32 s18, s16, s11
	s_ashr_i32 s10, s3, 31
	s_add_u32 s16, s2, s10
	s_mov_b32 s11, s10
	s_addc_u32 s17, s3, s10
	s_xor_b64 s[16:17], s[16:17], s[10:11]
	v_readfirstlane_b32 s20, v1
	s_mul_i32 s19, s16, s18
	s_mul_hi_u32 s21, s16, s20
	s_mul_hi_u32 s3, s16, s18
	s_add_u32 s19, s21, s19
	s_addc_u32 s3, 0, s3
	s_mul_hi_u32 s22, s17, s20
	s_mul_i32 s20, s17, s20
	s_add_u32 s19, s19, s20
	s_mul_hi_u32 s21, s17, s18
	s_addc_u32 s3, s3, s22
	s_addc_u32 s19, s21, 0
	s_mul_i32 s18, s17, s18
	s_add_u32 s3, s3, s18
	s_addc_u32 s18, 0, s19
	s_add_u32 s19, s3, 1
	s_addc_u32 s20, s18, 0
	s_add_u32 s21, s3, 2
	s_mul_i32 s23, s9, s18
	s_mul_hi_u32 s24, s9, s3
	s_addc_u32 s22, s18, 0
	s_add_i32 s24, s24, s23
	s_mul_i32 s23, s9, s3
	v_mov_b32_e32 v1, s23
	v_sub_co_u32_e32 v1, vcc, s16, v1
	s_cmp_lg_u64 vcc, 0
	s_subb_u32 s16, s17, s24
	v_subrev_co_u32_e32 v2, vcc, s9, v1
	s_cmp_lg_u64 vcc, 0
	s_subb_u32 s17, s16, 0
	v_readfirstlane_b32 s23, v2
	s_cmp_ge_u32 s23, s9
	s_cselect_b32 s23, -1, 0
	s_cmp_eq_u32 s17, 0
	s_cselect_b32 s17, s23, -1
	s_cmp_lg_u32 s17, 0
	s_cselect_b32 s17, s22, s20
	v_readfirstlane_b32 s20, v1
	s_cselect_b32 s19, s21, s19
	s_cmp_ge_u32 s20, s9
	s_cselect_b32 s20, -1, 0
	s_cmp_eq_u32 s16, 0
	s_cselect_b32 s16, s20, -1
	s_cmp_lg_u32 s16, 0
	s_cselect_b32 s17, s17, s18
	s_cselect_b32 s16, s19, s3
	s_xor_b64 s[16:17], s[16:17], s[10:11]
	s_sub_u32 s20, s16, s10
	s_load_dwordx4 s[16:19], s[4:5], 0x44
	s_cbranch_execnz .LBB12_3
.LBB12_2:
	v_cvt_f32_u32_e32 v1, s9
	s_sub_i32 s0, 0, s9
	v_rcp_iflag_f32_e32 v1, v1
	v_mul_f32_e32 v1, 0x4f7ffffe, v1
	v_cvt_u32_f32_e32 v1, v1
	v_readfirstlane_b32 s1, v1
	s_mul_i32 s0, s0, s1
	s_mul_hi_u32 s0, s1, s0
	s_add_i32 s1, s1, s0
	s_mul_hi_u32 s0, s2, s1
	s_mul_i32 s3, s0, s9
	s_sub_i32 s2, s2, s3
	s_add_i32 s1, s0, 1
	s_sub_i32 s3, s2, s9
	s_cmp_ge_u32 s2, s9
	s_cselect_b32 s0, s1, s0
	s_cselect_b32 s2, s3, s2
	s_add_i32 s1, s0, 1
	s_cmp_ge_u32 s2, s9
	s_cselect_b32 s20, s1, s0
.LBB12_3:
	s_add_i32 s0, s6, 1
	s_mul_hi_i32 s3, s15, s0
	s_mov_b32 s2, 0
	s_cmp_lg_u64 s[2:3], 0
	s_mul_i32 s2, s15, s0
	s_cbranch_scc0 .LBB12_22
; %bb.4:
	v_cvt_f32_u32_e32 v1, s9
	v_cvt_f32_ubyte0_e32 v2, 0
	s_sub_u32 s10, 0, s9
	s_subb_u32 s11, 0, 0
	v_madmk_f32 v1, v2, 0x4f800000, v1
	v_rcp_f32_e32 v1, v1
	v_mul_f32_e32 v1, 0x5f7ffffc, v1
	v_mul_f32_e32 v2, 0x2f800000, v1
	v_trunc_f32_e32 v2, v2
	v_madmk_f32 v1, v2, 0xcf800000, v1
	v_cvt_u32_f32_e32 v2, v2
	v_cvt_u32_f32_e32 v1, v1
	s_waitcnt lgkmcnt(0)
	v_readfirstlane_b32 s19, v2
	v_readfirstlane_b32 s21, v1
	s_mul_i32 s22, s10, s19
	s_mul_hi_u32 s24, s10, s21
	s_mul_i32 s23, s11, s21
	s_add_i32 s22, s24, s22
	s_add_i32 s22, s22, s23
	s_mul_i32 s25, s10, s21
	s_mul_hi_u32 s23, s21, s22
	s_mul_i32 s24, s21, s22
	s_mul_hi_u32 s21, s21, s25
	s_add_u32 s21, s21, s24
	s_addc_u32 s23, 0, s23
	s_mul_hi_u32 s26, s19, s25
	s_mul_i32 s25, s19, s25
	s_add_u32 s21, s21, s25
	s_mul_hi_u32 s24, s19, s22
	s_addc_u32 s21, s23, s26
	s_addc_u32 s23, s24, 0
	s_mul_i32 s22, s19, s22
	s_add_u32 s21, s21, s22
	s_addc_u32 s22, 0, s23
	v_add_co_u32_e32 v1, vcc, s21, v1
	s_cmp_lg_u64 vcc, 0
	s_addc_u32 s19, s19, s22
	v_readfirstlane_b32 s22, v1
	s_mul_i32 s21, s10, s19
	s_mul_hi_u32 s23, s10, s22
	s_add_i32 s21, s23, s21
	s_mul_i32 s11, s11, s22
	s_add_i32 s21, s21, s11
	s_mul_i32 s10, s10, s22
	s_mul_hi_u32 s23, s19, s10
	s_mul_i32 s24, s19, s10
	s_mul_i32 s26, s22, s21
	s_mul_hi_u32 s10, s22, s10
	s_mul_hi_u32 s25, s22, s21
	s_add_u32 s10, s10, s26
	s_addc_u32 s22, 0, s25
	s_add_u32 s10, s10, s24
	s_mul_hi_u32 s11, s19, s21
	s_addc_u32 s10, s22, s23
	s_addc_u32 s11, s11, 0
	s_mul_i32 s21, s19, s21
	s_add_u32 s10, s10, s21
	s_addc_u32 s11, 0, s11
	v_add_co_u32_e32 v1, vcc, s10, v1
	s_cmp_lg_u64 vcc, 0
	s_addc_u32 s19, s19, s11
	s_ashr_i32 s10, s3, 31
	s_add_u32 s22, s2, s10
	s_mov_b32 s11, s10
	s_addc_u32 s23, s3, s10
	s_xor_b64 s[22:23], s[22:23], s[10:11]
	v_readfirstlane_b32 s21, v1
	s_mul_i32 s11, s22, s19
	s_mul_hi_u32 s24, s22, s21
	s_mul_hi_u32 s3, s22, s19
	s_add_u32 s11, s24, s11
	s_addc_u32 s3, 0, s3
	s_mul_hi_u32 s25, s23, s21
	s_mul_i32 s21, s23, s21
	s_add_u32 s11, s11, s21
	s_mul_hi_u32 s24, s23, s19
	s_addc_u32 s3, s3, s25
	s_addc_u32 s11, s24, 0
	s_mul_i32 s19, s23, s19
	s_add_u32 s3, s3, s19
	s_addc_u32 s11, 0, s11
	s_mul_i32 s11, s9, s11
	s_mul_hi_u32 s24, s9, s3
	s_add_i32 s24, s24, s11
	s_mul_i32 s11, s9, s3
	v_mov_b32_e32 v1, s11
	s_add_u32 s19, s3, 1
	s_add_u32 s21, s3, 2
	v_sub_co_u32_e32 v1, vcc, s22, v1
	s_cmp_lg_u64 vcc, 0
	s_subb_u32 s11, s23, s24
	v_subrev_co_u32_e32 v2, vcc, s9, v1
	s_cmp_lg_u64 vcc, 0
	s_subb_u32 s22, s11, 0
	v_cmp_le_u32_e32 vcc, s9, v2
	s_cmp_eq_u32 s22, 0
	v_cndmask_b32_e64 v2, 0, -1, vcc
	s_cselect_b64 vcc, -1, 0
	v_cndmask_b32_e32 v2, -1, v2, vcc
	v_mov_b32_e32 v3, s19
	v_mov_b32_e32 v4, s21
	v_cmp_ne_u32_e32 vcc, 0, v2
	v_cndmask_b32_e32 v2, v3, v4, vcc
	v_cmp_le_u32_e32 vcc, s9, v1
	s_cmp_eq_u32 s11, 0
	v_cndmask_b32_e64 v1, 0, -1, vcc
	s_cselect_b64 vcc, -1, 0
	v_cndmask_b32_e32 v1, -1, v1, vcc
	v_mov_b32_e32 v3, s3
	v_cmp_ne_u32_e32 vcc, 0, v1
	v_cndmask_b32_e32 v1, v3, v2, vcc
	v_xor_b32_e32 v1, s10, v1
	v_subrev_co_u32_e32 v2, vcc, s10, v1
	s_cbranch_execnz .LBB12_6
.LBB12_5:
	v_cvt_f32_u32_e32 v1, s9
	s_sub_i32 s0, 0, s9
	s_mov_b32 s1, 0
	v_rcp_iflag_f32_e32 v1, v1
	v_mul_f32_e32 v1, 0x4f7ffffe, v1
	v_cvt_u32_f32_e32 v1, v1
	v_readfirstlane_b32 s3, v1
	s_mul_i32 s0, s0, s3
	s_mul_hi_u32 s0, s3, s0
	s_add_i32 s3, s3, s0
	s_mul_hi_u32 s0, s2, s3
	s_mul_i32 s10, s0, s9
	s_sub_i32 s2, s2, s10
	s_add_i32 s3, s0, 1
	s_sub_i32 s10, s2, s9
	s_cmp_ge_u32 s2, s9
	s_cselect_b32 s0, s3, s0
	s_cselect_b32 s2, s10, s2
	s_add_i32 s3, s0, 1
	s_cmp_ge_u32 s2, s9
	s_cselect_b32 s0, s3, s0
	v_pk_mov_b32 v[2:3], s[0:1], s[0:1] op_sel:[0,1]
.LBB12_6:
	s_waitcnt lgkmcnt(0)
	s_mul_hi_u32 s0, s20, s16
	s_add_i32 s0, s0, s20
	v_mul_hi_u32 v1, v2, s16
	s_lshr_b32 s19, s0, s17
	v_add_u32_e32 v1, v1, v2
	s_mul_i32 s0, s19, s18
	v_lshrrev_b32_e32 v1, s17, v1
	s_cmp_eq_u32 s0, s20
	v_cmp_eq_u32_e64 s[0:1], s19, v1
	v_mul_lo_u32 v1, v1, s18
	v_cmp_eq_u32_e32 vcc, s20, v2
	s_cselect_b64 s[10:11], -1, 0
	v_cmp_ne_u32_e64 s[2:3], v1, v2
	s_and_b64 s[0:1], s[0:1], s[2:3]
	s_or_b64 s[2:3], vcc, s[10:11]
	s_or_b64 s[0:1], s[2:3], s[0:1]
	s_and_b64 vcc, exec, s[0:1]
	s_cbranch_vccnz .LBB12_24
; %bb.7:
	s_load_dwordx8 s[24:31], s[4:5], 0x20
	s_load_dword s0, s[4:5], 0x40
	s_mov_b32 s10, 0
	s_waitcnt lgkmcnt(0)
	s_mul_hi_u32 s1, s20, s24
	s_add_i32 s1, s1, s20
	s_lshr_b32 s11, s1, s25
	s_mul_i32 s1, s11, s26
	s_sub_i32 s1, s20, s1
	s_mul_hi_u32 s2, s1, s27
	s_add_i32 s2, s1, s2
	s_lshr_b32 s24, s2, s28
	s_mul_i32 s2, s24, s29
	s_sub_i32 s1, s1, s2
	;; [unrolled: 5-line block ×3, first 2 shown]
	s_mul_hi_u32 s1, s0, s16
	s_add_i32 s0, s0, s1
	s_lshr_b32 s26, s0, s17
	s_lshl_b32 s0, s26, 1
	s_lshl_b32 s25, s2, 4
	s_add_i32 s0, s0, s7
	s_cmp_lt_i32 s0, s12
	s_cselect_b64 s[0:1], -1, 0
	s_add_i32 s2, s25, s8
	s_cmp_lt_i32 s2, s14
	s_cselect_b64 s[2:3], -1, 0
	s_and_b64 s[0:1], s[0:1], s[2:3]
	s_andn2_b64 vcc, exec, s[0:1]
	s_cbranch_vccnz .LBB12_24
; %bb.8:
	s_load_dwordx4 s[0:3], s[4:5], 0x0
	s_lshl_b32 s21, s7, 4
	s_lshl_b32 s4, s9, 7
	s_mov_b32 s5, s10
	s_add_i32 s21, s21, s8
	s_lshl_b64 s[4:5], s[4:5], 2
	s_waitcnt lgkmcnt(0)
	s_add_u32 s22, s2, s4
	s_mul_i32 s4, s11, s12
	s_addc_u32 s23, s3, s5
	s_add_i32 s4, s4, s7
	s_mul_i32 s4, s4, s13
	s_mul_i32 s24, s24, s14
	s_add_i32 s4, s4, s8
	s_add_i32 s4, s4, s24
	s_mul_i32 s5, s13, s26
	s_add_i32 s4, s4, s25
	s_lshl_b32 s5, s5, 10
	s_lshl_b32 s4, s4, 9
	s_add_i32 s5, s5, s4
	v_or_b32_e32 v2, s5, v0
	v_ashrrev_i32_e32 v3, 31, v2
	v_lshlrev_b64 v[2:3], 2, v[2:3]
	v_mov_b32_e32 v1, s1
	v_add_co_u32_e32 v2, vcc, s0, v2
	v_addc_co_u32_e32 v3, vcc, v1, v3, vcc
	global_load_dword v5, v[2:3], off
	v_lshl_or_b32 v4, s21, 9, v0
	v_cvt_f32_u32_e32 v0, s9
	v_cvt_f32_ubyte0_e32 v1, 0
	s_lshl_b32 s0, s6, 5
	s_add_i32 s0, s21, s0
	v_mac_f32_e32 v0, 0x4f800000, v1
	v_rcp_f32_e32 v0, v0
	v_cvt_f32_u32_e32 v1, s9
	s_ashr_i32 s1, s0, 31
	s_lshl_b64 s[0:1], s[0:1], 3
	v_mul_f32_e32 v0, 0x5f7ffffc, v0
	v_rcp_iflag_f32_e32 v1, v1
	s_add_u32 s0, s2, s0
	v_mul_f32_e32 v9, 0x2f800000, v0
	s_addc_u32 s1, s3, s1
	v_trunc_f32_e32 v10, v9
	s_load_dwordx2 s[0:1], s[0:1], 0x0
	v_mac_f32_e32 v0, 0xcf800000, v10
	v_cvt_u32_f32_e32 v9, v0
	v_mul_f32_e32 v0, 0x4f7ffffe, v1
	v_cvt_u32_f32_e32 v10, v10
	v_cvt_u32_f32_e32 v11, v0
	s_add_i32 s8, s6, -1
	s_waitcnt lgkmcnt(0)
	v_mov_b32_e32 v6, s1
	v_mov_b32_e32 v7, s0
	;; [unrolled: 1-line block ×3, first 2 shown]
	s_mov_b32 s6, 0x3fb8aa3b
	s_mov_b32 s7, 0xc2ce8ed0
	s_mov_b32 s12, 0x42b17218
	s_mov_b32 s13, 0xc1a00000
	v_mov_b32_e32 v12, 0x7f800000
	s_mul_hi_i32 s11, s8, s15
	s_cmp_lg_u64 s[10:11], 0
	s_mul_i32 s4, s8, s15
	s_cbranch_scc0 .LBB12_15
.LBB12_9:
	s_sub_u32 s0, 0, s9
	v_readfirstlane_b32 s5, v9
	v_readfirstlane_b32 s24, v10
	s_subb_u32 s1, 0, 0
	s_mul_hi_u32 s20, s0, s5
	s_mul_i32 s25, s0, s24
	s_mul_i32 s14, s1, s5
	s_add_i32 s20, s20, s25
	s_add_i32 s20, s20, s14
	s_mul_i32 s26, s0, s5
	s_mul_hi_u32 s14, s5, s20
	s_mul_i32 s25, s5, s20
	s_mul_hi_u32 s5, s5, s26
	s_add_u32 s5, s5, s25
	s_addc_u32 s14, 0, s14
	s_mul_hi_u32 s27, s24, s26
	s_mul_i32 s26, s24, s26
	s_add_u32 s5, s5, s26
	s_mul_hi_u32 s25, s24, s20
	s_addc_u32 s5, s14, s27
	s_addc_u32 s14, s25, 0
	s_mul_i32 s20, s24, s20
	s_add_u32 s5, s5, s20
	s_addc_u32 s14, 0, s14
	v_add_co_u32_e32 v0, vcc, s5, v9
	s_cmp_lg_u64 vcc, 0
	s_addc_u32 s5, s24, s14
	v_readfirstlane_b32 s20, v0
	s_mul_i32 s14, s0, s5
	s_mul_hi_u32 s24, s0, s20
	s_add_i32 s14, s24, s14
	s_mul_i32 s1, s1, s20
	s_add_i32 s14, s14, s1
	s_mul_i32 s0, s0, s20
	s_mul_hi_u32 s24, s5, s0
	s_mul_i32 s25, s5, s0
	s_mul_i32 s27, s20, s14
	s_mul_hi_u32 s0, s20, s0
	s_mul_hi_u32 s26, s20, s14
	s_add_u32 s0, s0, s27
	s_addc_u32 s20, 0, s26
	s_add_u32 s0, s0, s25
	s_mul_hi_u32 s1, s5, s14
	s_addc_u32 s0, s20, s24
	s_addc_u32 s1, s1, 0
	s_mul_i32 s14, s5, s14
	s_add_u32 s0, s0, s14
	s_addc_u32 s1, 0, s1
	v_add_co_u32_e32 v0, vcc, s0, v0
	s_cmp_lg_u64 vcc, 0
	s_addc_u32 s5, s5, s1
	s_ashr_i32 s0, s11, 31
	s_add_u32 s24, s4, s0
	s_mov_b32 s1, s0
	s_addc_u32 s25, s11, s0
	s_xor_b64 s[24:25], s[24:25], s[0:1]
	v_readfirstlane_b32 s14, v0
	s_mul_i32 s11, s24, s5
	s_mul_hi_u32 s20, s24, s14
	s_mul_hi_u32 s1, s24, s5
	s_add_u32 s11, s20, s11
	s_addc_u32 s1, 0, s1
	s_mul_hi_u32 s26, s25, s14
	s_mul_i32 s14, s25, s14
	s_add_u32 s11, s11, s14
	s_mul_hi_u32 s20, s25, s5
	s_addc_u32 s1, s1, s26
	s_addc_u32 s11, s20, 0
	s_mul_i32 s5, s25, s5
	s_add_u32 s1, s1, s5
	s_addc_u32 s5, 0, s11
	s_mul_i32 s5, s9, s5
	s_mul_hi_u32 s20, s9, s1
	s_add_i32 s20, s20, s5
	s_mul_i32 s5, s9, s1
	v_mov_b32_e32 v0, s5
	s_add_u32 s11, s1, 1
	s_add_u32 s14, s1, 2
	v_sub_co_u32_e32 v0, vcc, s24, v0
	s_cmp_lg_u64 vcc, 0
	s_subb_u32 s5, s25, s20
	v_subrev_co_u32_e32 v1, vcc, s9, v0
	s_cmp_lg_u64 vcc, 0
	s_subb_u32 s20, s5, 0
	v_cmp_le_u32_e32 vcc, s9, v1
	s_cmp_eq_u32 s20, 0
	v_cndmask_b32_e64 v1, 0, -1, vcc
	s_cselect_b64 vcc, -1, 0
	v_cndmask_b32_e32 v1, -1, v1, vcc
	v_mov_b32_e32 v13, s11
	v_mov_b32_e32 v14, s14
	v_cmp_ne_u32_e32 vcc, 0, v1
	v_cndmask_b32_e32 v1, v13, v14, vcc
	v_cmp_le_u32_e32 vcc, s9, v0
	s_cmp_eq_u32 s5, 0
	v_cndmask_b32_e64 v0, 0, -1, vcc
	s_cselect_b64 vcc, -1, 0
	v_cndmask_b32_e32 v0, -1, v0, vcc
	v_mov_b32_e32 v13, s1
	v_cmp_ne_u32_e32 vcc, 0, v0
	v_cndmask_b32_e32 v0, v13, v1, vcc
	v_xor_b32_e32 v0, s0, v0
	v_subrev_co_u32_e32 v0, vcc, s0, v0
	s_cbranch_execnz .LBB12_11
.LBB12_10:
	s_sub_i32 s0, 0, s9
	v_mul_lo_u32 v0, s0, v11
	v_mul_hi_u32 v0, v11, v0
	v_add_u32_e32 v0, v11, v0
	v_mul_hi_u32 v0, s4, v0
	v_mul_lo_u32 v13, v0, s9
	v_sub_u32_e32 v13, s4, v13
	v_add_u32_e32 v1, 1, v0
	v_subrev_u32_e32 v14, s9, v13
	v_cmp_le_u32_e32 vcc, s9, v13
	v_cndmask_b32_e32 v13, v13, v14, vcc
	v_cndmask_b32_e32 v0, v0, v1, vcc
	v_add_u32_e32 v1, 1, v0
	v_cmp_le_u32_e32 vcc, s9, v13
	v_cndmask_b32_e32 v0, v0, v1, vcc
.LBB12_11:
	v_cmp_ne_u32_e32 vcc, v8, v0
	s_cbranch_vccz .LBB12_14
; %bb.12:
	s_add_i32 s0, s8, s9
	s_lshl_b32 s0, s0, 5
	v_mul_hi_u32 v1, v0, s16
	s_add_i32 s0, s0, s21
	s_mov_b32 s1, s10
	v_add_u32_e32 v1, v1, v0
	s_lshl_b64 s[0:1], s[0:1], 3
	v_lshrrev_b32_e32 v1, s17, v1
	s_add_u32 s4, s2, s0
	v_mul_lo_u32 v13, v1, s18
	s_addc_u32 s5, s3, s1
	v_cmp_eq_u32_e32 vcc, v13, v0
	v_cmp_gt_u32_e64 s[0:1], s19, v1
	s_or_b64 s[0:1], s[0:1], vcc
	s_and_b64 vcc, exec, s[0:1]
	s_cbranch_vccnz .LBB12_16
; %bb.13:
	s_add_i32 s11, s8, -1
	s_mov_b64 s[0:1], 0
	s_branch .LBB12_17
.LBB12_14:
                                        ; implicit-def: $sgpr0_sgpr1
                                        ; implicit-def: $vgpr14
                                        ; implicit-def: $vgpr1
                                        ; implicit-def: $vgpr13
                                        ; implicit-def: $sgpr11
                                        ; implicit-def: $vgpr0
	s_branch .LBB12_18
.LBB12_15:
                                        ; implicit-def: $vgpr0_vgpr1
	s_branch .LBB12_10
.LBB12_16:
	s_mov_b64 s[0:1], -1
	s_mov_b32 s11, s8
	v_mov_b32_e32 v0, v8
.LBB12_17:
	v_lshl_add_u32 v14, s8, 14, v4
	v_ashrrev_i32_e32 v15, 31, v14
	v_lshlrev_b64 v[14:15], 2, v[14:15]
	v_mov_b32_e32 v1, s23
	v_add_co_u32_e32 v14, vcc, s22, v14
	v_addc_co_u32_e32 v15, vcc, v1, v15, vcc
	global_load_dword v14, v[14:15], off
	s_load_dwordx2 s[4:5], s[4:5], 0x0
	v_max_f32_e32 v1, v7, v7
	s_waitcnt lgkmcnt(0)
	v_max_f32_e64 v13, s4, s4
	v_max_f32_e32 v1, v1, v13
	v_sub_f32_e32 v13, v7, v1
	v_sub_f32_e32 v15, s4, v1
	v_mul_f32_e32 v16, 0x3fb8aa3b, v13
	v_mul_f32_e32 v17, 0x3fb8aa3b, v15
	v_fma_f32 v18, v13, s6, -v16
	v_rndne_f32_e32 v19, v16
	v_fma_f32 v20, v15, s6, -v17
	v_rndne_f32_e32 v21, v17
	v_fmac_f32_e32 v18, 0x32a5705f, v13
	v_sub_f32_e32 v16, v16, v19
	v_fmac_f32_e32 v20, 0x32a5705f, v15
	v_sub_f32_e32 v17, v17, v21
	v_add_f32_e32 v16, v16, v18
	v_cvt_i32_f32_e32 v19, v19
	v_add_f32_e32 v17, v17, v20
	v_exp_f32_e32 v16, v16
	v_cvt_i32_f32_e32 v21, v21
	v_exp_f32_e32 v17, v17
	v_cmp_ngt_f32_e32 vcc, s7, v13
	v_ldexp_f32 v16, v16, v19
	v_cndmask_b32_e32 v16, 0, v16, vcc
	v_ldexp_f32 v17, v17, v21
	v_cmp_ngt_f32_e32 vcc, s7, v15
	v_cndmask_b32_e32 v17, 0, v17, vcc
	v_cmp_nlt_f32_e32 vcc, s12, v13
	v_cndmask_b32_e32 v16, v12, v16, vcc
	v_cmp_nlt_f32_e32 vcc, s12, v15
	v_cndmask_b32_e32 v17, v12, v17, vcc
	v_cmp_le_f32_e32 vcc, s13, v13
	v_cndmask_b32_e32 v16, 0, v16, vcc
	v_cmp_le_f32_e32 vcc, s13, v15
	v_cndmask_b32_e32 v15, 0, v17, vcc
	v_mul_f32_e32 v13, s5, v15
	v_fmac_f32_e32 v13, v6, v16
	s_waitcnt vmcnt(0)
	v_mul_f32_e32 v14, v14, v15
	v_fmac_f32_e32 v14, v5, v16
	s_cbranch_execnz .LBB12_19
.LBB12_18:
	s_add_i32 s11, s8, -1
	s_mov_b64 s[0:1], 0
	v_mov_b32_e32 v0, v8
	v_mov_b32_e32 v13, v6
	;; [unrolled: 1-line block ×3, first 2 shown]
	s_waitcnt vmcnt(0)
	v_mov_b32_e32 v14, v5
.LBB12_19:
	s_andn2_b64 vcc, exec, s[0:1]
	s_cbranch_vccz .LBB12_23
; %bb.20:
	v_mov_b32_e32 v8, v0
	s_mov_b32 s8, s11
	v_mov_b32_e32 v6, v13
	v_mov_b32_e32 v7, v1
	s_waitcnt vmcnt(0)
	v_mov_b32_e32 v5, v14
	s_mul_hi_i32 s11, s8, s15
	s_cmp_lg_u64 s[10:11], 0
	s_mul_i32 s4, s8, s15
	s_cbranch_scc1 .LBB12_9
	s_branch .LBB12_15
.LBB12_21:
                                        ; implicit-def: $sgpr20_sgpr21
	s_load_dwordx4 s[16:19], s[4:5], 0x44
	s_branch .LBB12_2
.LBB12_22:
                                        ; implicit-def: $vgpr2_vgpr3
	s_branch .LBB12_5
.LBB12_23:
	v_div_scale_f32 v0, s[0:1], v13, v13, v14
	v_rcp_f32_e32 v1, v0
	v_div_scale_f32 v4, vcc, v14, v13, v14
	s_waitcnt vmcnt(0)
	v_fma_f32 v5, -v0, v1, 1.0
	v_fmac_f32_e32 v1, v5, v1
	v_mul_f32_e32 v5, v4, v1
	v_fma_f32 v6, -v0, v5, v4
	v_fmac_f32_e32 v5, v6, v1
	v_fma_f32 v0, -v0, v5, v4
	v_div_fmas_f32 v0, v0, v1, v5
	v_div_fixup_f32 v0, v0, v13, v14
	global_store_dword v[2:3], v0, off
.LBB12_24:
	s_endpgm
	.section	.rodata,"a",@progbits
	.p2align	6, 0x0
	.amdhsa_kernel _ZL33flash_attn_stream_k_fixup_generalILi512ELi2ELi16EEvPfPK15HIP_vector_typeIfLj2EEiiiiS1_IjLj3EES5_S5_S5_
		.amdhsa_group_segment_fixed_size 0
		.amdhsa_private_segment_fixed_size 0
		.amdhsa_kernarg_size 336
		.amdhsa_user_sgpr_count 6
		.amdhsa_user_sgpr_private_segment_buffer 1
		.amdhsa_user_sgpr_dispatch_ptr 0
		.amdhsa_user_sgpr_queue_ptr 0
		.amdhsa_user_sgpr_kernarg_segment_ptr 1
		.amdhsa_user_sgpr_dispatch_id 0
		.amdhsa_user_sgpr_flat_scratch_init 0
		.amdhsa_user_sgpr_kernarg_preload_length 0
		.amdhsa_user_sgpr_kernarg_preload_offset 0
		.amdhsa_user_sgpr_private_segment_size 0
		.amdhsa_uses_dynamic_stack 0
		.amdhsa_system_sgpr_private_segment_wavefront_offset 0
		.amdhsa_system_sgpr_workgroup_id_x 1
		.amdhsa_system_sgpr_workgroup_id_y 1
		.amdhsa_system_sgpr_workgroup_id_z 1
		.amdhsa_system_sgpr_workgroup_info 0
		.amdhsa_system_vgpr_workitem_id 0
		.amdhsa_next_free_vgpr 22
		.amdhsa_next_free_sgpr 32
		.amdhsa_accum_offset 24
		.amdhsa_reserve_vcc 1
		.amdhsa_reserve_flat_scratch 0
		.amdhsa_float_round_mode_32 0
		.amdhsa_float_round_mode_16_64 0
		.amdhsa_float_denorm_mode_32 3
		.amdhsa_float_denorm_mode_16_64 3
		.amdhsa_dx10_clamp 1
		.amdhsa_ieee_mode 1
		.amdhsa_fp16_overflow 0
		.amdhsa_tg_split 0
		.amdhsa_exception_fp_ieee_invalid_op 0
		.amdhsa_exception_fp_denorm_src 0
		.amdhsa_exception_fp_ieee_div_zero 0
		.amdhsa_exception_fp_ieee_overflow 0
		.amdhsa_exception_fp_ieee_underflow 0
		.amdhsa_exception_fp_ieee_inexact 0
		.amdhsa_exception_int_div_zero 0
	.end_amdhsa_kernel
	.section	.text._ZL33flash_attn_stream_k_fixup_generalILi512ELi2ELi16EEvPfPK15HIP_vector_typeIfLj2EEiiiiS1_IjLj3EES5_S5_S5_,"axG",@progbits,_ZL33flash_attn_stream_k_fixup_generalILi512ELi2ELi16EEvPfPK15HIP_vector_typeIfLj2EEiiiiS1_IjLj3EES5_S5_S5_,comdat
.Lfunc_end12:
	.size	_ZL33flash_attn_stream_k_fixup_generalILi512ELi2ELi16EEvPfPK15HIP_vector_typeIfLj2EEiiiiS1_IjLj3EES5_S5_S5_, .Lfunc_end12-_ZL33flash_attn_stream_k_fixup_generalILi512ELi2ELi16EEvPfPK15HIP_vector_typeIfLj2EEiiiiS1_IjLj3EES5_S5_S5_
                                        ; -- End function
	.section	.AMDGPU.csdata,"",@progbits
; Kernel info:
; codeLenInByte = 2824
; NumSgprs: 36
; NumVgprs: 22
; NumAgprs: 0
; TotalNumVgprs: 22
; ScratchSize: 0
; MemoryBound: 0
; FloatMode: 240
; IeeeMode: 1
; LDSByteSize: 0 bytes/workgroup (compile time only)
; SGPRBlocks: 4
; VGPRBlocks: 2
; NumSGPRsForWavesPerEU: 36
; NumVGPRsForWavesPerEU: 22
; AccumOffset: 24
; Occupancy: 8
; WaveLimiterHint : 0
; COMPUTE_PGM_RSRC2:SCRATCH_EN: 0
; COMPUTE_PGM_RSRC2:USER_SGPR: 6
; COMPUTE_PGM_RSRC2:TRAP_HANDLER: 0
; COMPUTE_PGM_RSRC2:TGID_X_EN: 1
; COMPUTE_PGM_RSRC2:TGID_Y_EN: 1
; COMPUTE_PGM_RSRC2:TGID_Z_EN: 1
; COMPUTE_PGM_RSRC2:TIDIG_COMP_CNT: 0
; COMPUTE_PGM_RSRC3_GFX90A:ACCUM_OFFSET: 5
; COMPUTE_PGM_RSRC3_GFX90A:TG_SPLIT: 0
	.section	.text._ZL26flash_attn_combine_resultsILi512EEvPKfPK15HIP_vector_typeIfLj2EEPfi,"axG",@progbits,_ZL26flash_attn_combine_resultsILi512EEvPKfPK15HIP_vector_typeIfLj2EEPfi,comdat
	.globl	_ZL26flash_attn_combine_resultsILi512EEvPKfPK15HIP_vector_typeIfLj2EEPfi ; -- Begin function _ZL26flash_attn_combine_resultsILi512EEvPKfPK15HIP_vector_typeIfLj2EEPfi
	.p2align	8
	.type	_ZL26flash_attn_combine_resultsILi512EEvPKfPK15HIP_vector_typeIfLj2EEPfi,@function
_ZL26flash_attn_combine_resultsILi512EEvPKfPK15HIP_vector_typeIfLj2EEPfi: ; @_ZL26flash_attn_combine_resultsILi512EEvPKfPK15HIP_vector_typeIfLj2EEPfi
; %bb.0:
	s_load_dwordx2 s[10:11], s[4:5], 0x20
	s_load_dword s17, s[4:5], 0x18
	s_load_dwordx4 s[0:3], s[4:5], 0x0
	s_load_dwordx2 s[14:15], s[4:5], 0x10
	s_waitcnt lgkmcnt(0)
	s_mul_i32 s4, s10, s8
	s_add_i32 s4, s4, s6
	s_mul_i32 s16, s4, s11
	s_add_i32 s16, s16, s7
	s_lshl_b32 s18, s17, 1
	s_mul_i32 s4, s16, s17
	v_cmp_gt_i32_e32 vcc, s18, v0
	s_and_saveexec_b64 s[6:7], vcc
	s_cbranch_execz .LBB13_13
; %bb.1:
	v_xad_u32 v1, v0, -1, s18
	s_movk_i32 s8, 0x1ff
	s_ashr_i32 s5, s4, 31
	v_cmp_lt_u32_e32 vcc, s8, v1
	s_mov_b64 s[10:11], -1
	v_mov_b32_e32 v2, v0
	s_and_saveexec_b64 s[8:9], vcc
	s_cbranch_execz .LBB13_10
; %bb.2:
	v_lshrrev_b32_e32 v6, 9, v1
	s_lshl_b64 s[10:11], s[4:5], 3
	v_add_u32_e32 v2, -1, v6
	s_add_u32 s19, s2, s10
	v_or_b32_e32 v1, 0x200, v0
	v_lshrrev_b32_e32 v3, 1, v2
	s_addc_u32 s20, s3, s11
	v_add_u32_e32 v7, 1, v3
	v_cmp_lt_u32_e32 vcc, 13, v2
	v_mov_b32_e32 v4, 0
	v_pk_mov_b32 v[2:3], v[0:1], v[0:1] op_sel:[0,1]
	s_and_saveexec_b64 s[10:11], vcc
	s_cbranch_execz .LBB13_6
; %bb.3:
	v_and_b32_e32 v8, -8, v7
	s_mov_b32 s21, 0
	v_lshl_add_u32 v9, v0, 2, 0
	s_mov_b64 s[12:13], 0
	v_mov_b32_e32 v10, s20
	v_mov_b32_e32 v5, 0
	v_pk_mov_b32 v[2:3], v[0:1], v[0:1] op_sel:[0,1]
.LBB13_4:                               ; =>This Inner Loop Header: Depth=1
	v_mov_b32_e32 v4, v2
	v_lshlrev_b64 v[26:27], 2, v[4:5]
	v_add_u32_e32 v12, 0x400, v3
	v_mov_b32_e32 v13, v5
	v_add_co_u32_e32 v26, vcc, s19, v26
	v_lshlrev_b64 v[12:13], 2, v[12:13]
	v_addc_co_u32_e32 v27, vcc, v10, v27, vcc
	v_add_u32_e32 v14, 0x800, v3
	v_mov_b32_e32 v15, v5
	v_add_co_u32_e32 v12, vcc, s19, v12
	v_lshlrev_b64 v[14:15], 2, v[14:15]
	v_addc_co_u32_e32 v13, vcc, v10, v13, vcc
	;; [unrolled: 5-line block ×7, first 2 shown]
	v_mov_b32_e32 v4, v3
	v_add_co_u32_e32 v24, vcc, s19, v24
	v_lshlrev_b64 v[28:29], 2, v[4:5]
	v_addc_co_u32_e32 v25, vcc, v10, v25, vcc
	v_add_u32_e32 v4, 0x400, v2
	v_add_co_u32_e32 v28, vcc, s19, v28
	v_addc_co_u32_e32 v29, vcc, v10, v29, vcc
	global_load_dword v1, v[26:27], off
	v_lshlrev_b64 v[26:27], 2, v[4:5]
	v_add_u32_e32 v4, 0x800, v2
	v_add_co_u32_e32 v26, vcc, s19, v26
	v_addc_co_u32_e32 v27, vcc, v10, v27, vcc
	v_lshlrev_b64 v[30:31], 2, v[4:5]
	v_add_u32_e32 v4, 0xc00, v2
	global_load_dword v11, v[28:29], off
	global_load_dword v32, v[26:27], off
	;; [unrolled: 1-line block ×3, first 2 shown]
	v_add_co_u32_e32 v12, vcc, s19, v30
	v_addc_co_u32_e32 v13, vcc, v10, v31, vcc
	v_lshlrev_b64 v[26:27], 2, v[4:5]
	v_add_u32_e32 v4, 0x1000, v2
	v_add_co_u32_e32 v26, vcc, s19, v26
	v_addc_co_u32_e32 v27, vcc, v10, v27, vcc
	v_lshlrev_b64 v[28:29], 2, v[4:5]
	v_add_u32_e32 v4, 0x1400, v2
	global_load_dword v30, v[12:13], off
	global_load_dword v31, v[14:15], off
	;; [unrolled: 1-line block ×4, first 2 shown]
	v_add_co_u32_e32 v12, vcc, s19, v28
	v_addc_co_u32_e32 v13, vcc, v10, v29, vcc
	v_lshlrev_b64 v[14:15], 2, v[4:5]
	v_add_u32_e32 v4, 0x1800, v2
	v_add_co_u32_e32 v14, vcc, s19, v14
	v_addc_co_u32_e32 v15, vcc, v10, v15, vcc
	v_lshlrev_b64 v[16:17], 2, v[4:5]
	v_add_u32_e32 v4, 0x1c00, v2
	global_load_dword v26, v[12:13], off
	global_load_dword v27, v[18:19], off
	;; [unrolled: 1-line block ×4, first 2 shown]
	v_add_co_u32_e32 v12, vcc, s19, v16
	v_addc_co_u32_e32 v13, vcc, v10, v17, vcc
	v_lshlrev_b64 v[14:15], 2, v[4:5]
	v_add_co_u32_e32 v14, vcc, s19, v14
	v_addc_co_u32_e32 v15, vcc, v10, v15, vcc
	global_load_dword v16, v[12:13], off
	global_load_dword v17, v[22:23], off
	;; [unrolled: 1-line block ×4, first 2 shown]
	v_add_u32_e32 v8, -8, v8
	s_add_i32 s21, s21, 16
	v_cmp_eq_u32_e32 vcc, 0, v8
	v_add_u32_e32 v3, 0x2000, v3
	v_mov_b32_e32 v4, s21
	s_or_b64 s[12:13], vcc, s[12:13]
	v_add_u32_e32 v2, 0x2000, v2
	s_waitcnt vmcnt(14)
	ds_write2st64_b32 v9, v1, v11 offset1:8
	s_waitcnt vmcnt(12)
	ds_write2st64_b32 v9, v32, v33 offset0:16 offset1:24
	s_waitcnt vmcnt(10)
	ds_write2st64_b32 v9, v30, v31 offset0:32 offset1:40
	;; [unrolled: 2-line block ×7, first 2 shown]
	v_add_u32_e32 v9, 0x8000, v9
	s_andn2_b64 exec, exec, s[12:13]
	s_cbranch_execnz .LBB13_4
; %bb.5:
	s_or_b64 exec, exec, s[12:13]
.LBB13_6:
	s_or_b64 exec, exec, s[10:11]
	v_and_b32_e32 v1, 7, v7
	v_cmp_ne_u32_e32 vcc, 0, v1
	s_and_saveexec_b64 s[10:11], vcc
	s_cbranch_execz .LBB13_9
; %bb.7:
	v_lshlrev_b32_e32 v5, 2, v0
	v_lshl_or_b32 v4, v4, 11, v5
	v_add_u32_e32 v7, 0, v4
	s_mov_b64 s[12:13], 0
	v_mov_b32_e32 v8, s20
	v_mov_b32_e32 v5, 0
.LBB13_8:                               ; =>This Inner Loop Header: Depth=1
	v_mov_b32_e32 v4, v2
	v_lshlrev_b64 v[10:11], 2, v[4:5]
	v_mov_b32_e32 v4, v3
	v_add_co_u32_e32 v10, vcc, s19, v10
	v_addc_co_u32_e32 v11, vcc, v8, v11, vcc
	v_lshlrev_b64 v[12:13], 2, v[4:5]
	v_add_co_u32_e32 v12, vcc, s19, v12
	v_addc_co_u32_e32 v13, vcc, v8, v13, vcc
	global_load_dword v4, v[10:11], off
	global_load_dword v9, v[12:13], off
	v_add_u32_e32 v1, -1, v1
	v_cmp_eq_u32_e32 vcc, 0, v1
	v_add_u32_e32 v2, 0x400, v2
	v_add_u32_e32 v3, 0x400, v3
	s_or_b64 s[12:13], vcc, s[12:13]
	s_waitcnt vmcnt(0)
	ds_write2st64_b32 v7, v4, v9 offset1:8
	v_add_u32_e32 v7, 0x1000, v7
	s_andn2_b64 exec, exec, s[12:13]
	s_cbranch_execnz .LBB13_8
.LBB13_9:
	s_or_b64 exec, exec, s[10:11]
	v_add_u32_e32 v1, 1, v6
	v_and_b32_e32 v3, 0xfffffe, v1
	v_cmp_ne_u32_e32 vcc, v1, v3
	v_lshl_or_b32 v2, v3, 9, v0
	s_orn2_b64 s[10:11], vcc, exec
.LBB13_10:
	s_or_b64 exec, exec, s[8:9]
	s_and_b64 exec, exec, s[10:11]
	s_cbranch_execz .LBB13_13
; %bb.11:
	s_lshl_b64 s[8:9], s[4:5], 3
	v_mov_b32_e32 v3, 0
	s_add_u32 s2, s2, s8
	v_lshlrev_b64 v[4:5], 2, v[2:3]
	s_addc_u32 s3, s3, s9
	v_mov_b32_e32 v1, s3
	v_add_co_u32_e32 v4, vcc, s2, v4
	v_addc_co_u32_e32 v5, vcc, v1, v5, vcc
	v_lshl_add_u32 v1, v2, 2, 0
	s_mov_b64 s[2:3], 0
.LBB13_12:                              ; =>This Inner Loop Header: Depth=1
	global_load_dword v3, v[4:5], off
	v_add_co_u32_e32 v4, vcc, 0x800, v4
	v_add_u32_e32 v2, 0x200, v2
	v_addc_co_u32_e32 v5, vcc, 0, v5, vcc
	v_cmp_le_i32_e32 vcc, s18, v2
	s_or_b64 s[2:3], vcc, s[2:3]
	s_waitcnt vmcnt(0)
	ds_write_b32 v1, v3
	v_add_u32_e32 v1, 0x800, v1
	s_andn2_b64 exec, exec, s[2:3]
	s_cbranch_execnz .LBB13_12
.LBB13_13:
	s_or_b64 exec, exec, s[6:7]
	v_mov_b32_e32 v1, 0
	s_waitcnt lgkmcnt(0)
	s_barrier
	ds_read_b32 v1, v1
	s_cmp_lt_i32 s17, 2
	s_cbranch_scc1 .LBB13_21
; %bb.14:
	s_add_i32 s2, s17, -1
	s_add_i32 s3, s17, -2
	s_cmp_lt_u32 s3, 7
	s_cbranch_scc1 .LBB13_18
; %bb.15:
	s_mov_b32 s6, 0
	s_add_i32 s3, 0, 8
	s_and_b32 s5, s2, -8
.LBB13_16:                              ; =>This Inner Loop Header: Depth=1
	v_mov_b32_e32 v8, s3
	ds_read2_b32 v[2:3], v8 offset1:2
	ds_read2_b32 v[4:5], v8 offset0:4 offset1:6
	ds_read2_b32 v[6:7], v8 offset0:8 offset1:10
	ds_read2_b32 v[8:9], v8 offset0:12 offset1:14
	s_mov_b32 s7, s6
	s_waitcnt lgkmcnt(3)
	v_max3_f32 v1, v1, v2, v3
	s_waitcnt lgkmcnt(2)
	v_max3_f32 v1, v1, v4, v5
	s_add_i32 s3, s3, 64
	s_add_i32 s6, s6, 8
	s_waitcnt lgkmcnt(1)
	v_max3_f32 v1, v1, v6, v7
	s_cmp_eq_u32 s5, s6
	s_waitcnt lgkmcnt(0)
	v_max3_f32 v1, v1, v8, v9
	s_cbranch_scc0 .LBB13_16
; %bb.17:
	s_add_i32 s3, s7, 9
	s_and_b32 s2, s2, 7
	s_cmp_eq_u32 s2, 0
	s_cbranch_scc0 .LBB13_19
	s_branch .LBB13_21
.LBB13_18:
	s_mov_b32 s3, 1
	s_and_b32 s2, s2, 7
	s_cmp_eq_u32 s2, 0
	s_cbranch_scc1 .LBB13_21
.LBB13_19:
	s_lshl_b32 s3, s3, 3
	s_add_i32 s3, s3, 0
.LBB13_20:                              ; =>This Inner Loop Header: Depth=1
	v_mov_b32_e32 v2, s3
	ds_read_b32 v2, v2
	s_waitcnt lgkmcnt(1)
	v_max_f32_e32 v1, v1, v1
	s_add_i32 s3, s3, 8
	s_add_i32 s2, s2, -1
	s_cmp_lg_u32 s2, 0
	s_waitcnt lgkmcnt(0)
	v_max_f32_e32 v2, v2, v2
	v_max_f32_e32 v1, v1, v2
	s_cbranch_scc1 .LBB13_20
.LBB13_21:
	s_cmp_lt_i32 s17, 1
	s_cbranch_scc1 .LBB13_26
; %bb.22:
	s_lshl_b32 s2, s4, 9
	s_ashr_i32 s3, s2, 31
	s_lshl_b64 s[2:3], s[2:3], 2
	s_add_u32 s18, s0, s2
	s_addc_u32 s19, s1, s3
	s_cmp_lt_u32 s17, 8
	v_mov_b32_e32 v6, 0
	s_cbranch_scc1 .LBB13_27
; %bb.23:
	s_and_b32 s20, s17, 0x7ffffff8
	v_or_b32_e32 v2, 0xe00, v0
	s_mov_b32 s21, 0
	v_mov_b32_e32 v5, 0
	s_mov_b32 s22, 0x3fb8aa3b
	s_mov_b32 s23, 0xc2ce8ed0
	;; [unrolled: 1-line block ×3, first 2 shown]
	v_mov_b32_e32 v8, 0x7f800000
	v_mov_b32_e32 v9, s19
	s_mov_b32 s25, 0
	v_mov_b32_e32 v7, 0
	v_mov_b32_e32 v6, 0
.LBB13_24:                              ; =>This Inner Loop Header: Depth=1
	v_add_u32_e32 v4, 0xfffff200, v2
	v_lshlrev_b64 v[26:27], 2, v[4:5]
	v_mov_b32_e32 v3, v5
	v_add_co_u32_e32 v26, vcc, s18, v26
	v_lshlrev_b64 v[28:29], 2, v[2:3]
	v_addc_co_u32_e32 v27, vcc, v9, v27, vcc
	v_add_u32_e32 v4, 0xfffff400, v2
	v_add_co_u32_e32 v28, vcc, s18, v28
	v_mov_b32_e32 v22, s21
	v_lshlrev_b64 v[30:31], 2, v[4:5]
	v_addc_co_u32_e32 v29, vcc, v9, v29, vcc
	ds_read2_b64 v[10:13], v22 offset1:1
	ds_read2_b64 v[14:17], v22 offset0:2 offset1:3
	ds_read2_b64 v[18:21], v22 offset0:4 offset1:5
	;; [unrolled: 1-line block ×3, first 2 shown]
	v_add_u32_e32 v4, 0xfffff600, v2
	global_load_dword v3, v[26:27], off
	v_add_co_u32_e32 v26, vcc, s18, v30
	v_addc_co_u32_e32 v27, vcc, v9, v31, vcc
	v_lshlrev_b64 v[30:31], 2, v[4:5]
	v_add_u32_e32 v4, 0xfffff800, v2
	v_add_co_u32_e32 v30, vcc, s18, v30
	v_addc_co_u32_e32 v31, vcc, v9, v31, vcc
	v_lshlrev_b64 v[32:33], 2, v[4:5]
	v_add_u32_e32 v4, 0xfffffa00, v2
	global_load_dword v34, v[26:27], off
	global_load_dword v35, v[30:31], off
	v_add_co_u32_e32 v26, vcc, s18, v32
	v_addc_co_u32_e32 v27, vcc, v9, v33, vcc
	v_lshlrev_b64 v[30:31], 2, v[4:5]
	v_add_u32_e32 v4, 0xfffffc00, v2
	v_add_co_u32_e32 v30, vcc, s18, v30
	v_addc_co_u32_e32 v31, vcc, v9, v31, vcc
	v_lshlrev_b64 v[32:33], 2, v[4:5]
	global_load_dword v36, v[26:27], off
	v_add_u32_e32 v4, 0xfffffe00, v2
	global_load_dword v28, v[28:29], off
	v_add_co_u32_e32 v26, vcc, s18, v32
	v_addc_co_u32_e32 v27, vcc, v9, v33, vcc
	global_load_dword v42, v[30:31], off
	s_waitcnt lgkmcnt(3)
	v_sub_f32_e32 v12, v12, v1
	global_load_dword v26, v[26:27], off
	v_lshlrev_b64 v[30:31], 2, v[4:5]
	v_add_co_u32_e32 v30, vcc, s18, v30
	v_addc_co_u32_e32 v31, vcc, v9, v31, vcc
	global_load_dword v30, v[30:31], off
	s_waitcnt lgkmcnt(2)
	v_sub_f32_e32 v14, v14, v1
	v_sub_f32_e32 v10, v10, v1
	v_mul_f32_e32 v38, 0x3fb8aa3b, v12
	v_mul_f32_e32 v39, 0x3fb8aa3b, v14
	s_waitcnt lgkmcnt(1)
	v_sub_f32_e32 v18, v18, v1
	s_waitcnt lgkmcnt(0)
	v_sub_f32_e32 v22, v22, v1
	v_mul_f32_e32 v37, 0x3fb8aa3b, v10
	v_fma_f32 v45, v12, s22, -v38
	v_rndne_f32_e32 v46, v38
	v_fma_f32 v47, v14, s22, -v39
	v_rndne_f32_e32 v48, v39
	v_sub_f32_e32 v16, v16, v1
	v_sub_f32_e32 v20, v20, v1
	v_mul_f32_e32 v41, 0x3fb8aa3b, v18
	v_mul_f32_e32 v32, 0x3fb8aa3b, v22
	v_fma_f32 v33, v10, s22, -v37
	v_rndne_f32_e32 v44, v37
	v_fmac_f32_e32 v45, 0x32a5705f, v12
	v_sub_f32_e32 v38, v38, v46
	v_fmac_f32_e32 v47, 0x32a5705f, v14
	v_sub_f32_e32 v39, v39, v48
	v_mul_f32_e32 v40, 0x3fb8aa3b, v16
	v_mul_f32_e32 v43, 0x3fb8aa3b, v20
	v_fma_f32 v27, v18, s22, -v41
	v_rndne_f32_e32 v31, v41
	v_fmac_f32_e32 v33, 0x32a5705f, v10
	v_sub_f32_e32 v37, v37, v44
	v_add_f32_e32 v38, v38, v45
	v_fma_f32 v45, v22, s22, -v32
	v_add_f32_e32 v39, v39, v47
	v_rndne_f32_e32 v47, v32
	v_fma_f32 v49, v16, s22, -v40
	v_rndne_f32_e32 v50, v40
	v_fma_f32 v29, v20, s22, -v43
	v_add_f32_e32 v33, v37, v33
	v_rndne_f32_e32 v37, v43
	v_fmac_f32_e32 v27, 0x32a5705f, v18
	v_sub_f32_e32 v41, v41, v31
	v_fmac_f32_e32 v45, 0x32a5705f, v22
	v_sub_f32_e32 v32, v32, v47
	;; [unrolled: 2-line block ×3, first 2 shown]
	v_add_f32_e32 v27, v41, v27
	v_cvt_i32_f32_e32 v44, v44
	v_fmac_f32_e32 v29, 0x32a5705f, v20
	v_sub_f32_e32 v43, v43, v37
	v_add_f32_e32 v32, v32, v45
	v_exp_f32_e32 v33, v33
	v_add_f32_e32 v40, v40, v49
	v_cvt_i32_f32_e32 v46, v46
	v_cvt_i32_f32_e32 v31, v31
	;; [unrolled: 1-line block ×3, first 2 shown]
	v_add_f32_e32 v29, v43, v29
	v_exp_f32_e32 v38, v38
	v_exp_f32_e32 v27, v27
	;; [unrolled: 1-line block ×3, first 2 shown]
	v_sub_f32_e32 v24, v24, v1
	v_cvt_i32_f32_e32 v48, v48
	v_cvt_i32_f32_e32 v50, v50
	;; [unrolled: 1-line block ×3, first 2 shown]
	v_exp_f32_e32 v39, v39
	v_exp_f32_e32 v40, v40
	;; [unrolled: 1-line block ×3, first 2 shown]
	v_mul_f32_e32 v4, 0x3fb8aa3b, v24
	v_fma_f32 v49, v24, s22, -v4
	v_rndne_f32_e32 v41, v4
	v_ldexp_f32 v33, v33, v44
	v_cmp_ngt_f32_e64 s[12:13], s23, v10
	v_fmac_f32_e32 v49, 0x32a5705f, v24
	v_sub_f32_e32 v4, v4, v41
	v_ldexp_f32 v38, v38, v46
	v_cmp_ngt_f32_e32 vcc, s23, v12
	v_ldexp_f32 v27, v27, v31
	v_ldexp_f32 v31, v32, v47
	v_cndmask_b32_e64 v32, 0, v33, s[12:13]
	v_cmp_nlt_f32_e64 s[12:13], s24, v10
	v_add_f32_e32 v4, v4, v49
	v_ldexp_f32 v39, v39, v48
	v_cmp_ngt_f32_e64 s[0:1], s23, v14
	v_ldexp_f32 v40, v40, v50
	v_cmp_ngt_f32_e64 s[2:3], s23, v16
	v_cmp_ngt_f32_e64 s[4:5], s23, v18
	v_ldexp_f32 v29, v29, v37
	v_cmp_ngt_f32_e64 s[6:7], s23, v20
	v_cmp_ngt_f32_e64 s[8:9], s23, v22
	v_cndmask_b32_e32 v33, 0, v38, vcc
	v_cmp_nlt_f32_e32 vcc, s24, v12
	v_cndmask_b32_e64 v10, v8, v32, s[12:13]
	v_cvt_i32_f32_e32 v41, v41
	v_exp_f32_e32 v4, v4
	v_cndmask_b32_e64 v12, 0, v39, s[0:1]
	v_cmp_nlt_f32_e64 s[0:1], s24, v14
	v_cndmask_b32_e64 v14, 0, v40, s[2:3]
	v_cmp_nlt_f32_e64 s[2:3], s24, v16
	v_cndmask_b32_e64 v16, 0, v27, s[4:5]
	v_cmp_nlt_f32_e64 s[4:5], s24, v18
	v_cndmask_b32_e64 v18, 0, v29, s[6:7]
	v_cmp_nlt_f32_e64 s[6:7], s24, v20
	v_cndmask_b32_e64 v20, 0, v31, s[8:9]
	v_cmp_nlt_f32_e64 s[8:9], s24, v22
	v_cndmask_b32_e32 v22, v8, v33, vcc
	v_fmac_f32_e32 v7, v10, v11
	s_waitcnt vmcnt(7)
	v_fmac_f32_e32 v6, v3, v10
	v_cndmask_b32_e64 v12, v8, v12, s[0:1]
	v_fmac_f32_e32 v7, v22, v13
	s_waitcnt vmcnt(6)
	v_fmac_f32_e32 v6, v34, v22
	v_cndmask_b32_e64 v14, v8, v14, s[2:3]
	;; [unrolled: 4-line block ×3, first 2 shown]
	v_fmac_f32_e32 v7, v14, v17
	s_waitcnt vmcnt(4)
	v_fmac_f32_e32 v6, v36, v14
	v_ldexp_f32 v4, v4, v41
	v_cmp_ngt_f32_e64 s[10:11], s23, v24
	v_cndmask_b32_e64 v18, v8, v18, s[6:7]
	v_fmac_f32_e32 v7, v16, v19
	s_waitcnt vmcnt(2)
	v_fmac_f32_e32 v6, v42, v16
	v_cndmask_b32_e64 v4, 0, v4, s[10:11]
	v_cmp_nlt_f32_e64 s[10:11], s24, v24
	v_cndmask_b32_e64 v20, v8, v20, s[8:9]
	v_fmac_f32_e32 v7, v18, v21
	s_waitcnt vmcnt(1)
	v_fmac_f32_e32 v6, v26, v18
	s_add_i32 s25, s25, 8
	s_add_i32 s21, s21, 64
	v_cndmask_b32_e64 v4, v8, v4, s[10:11]
	v_fmac_f32_e32 v7, v20, v23
	s_waitcnt vmcnt(0)
	v_fmac_f32_e32 v6, v30, v20
	s_cmp_eq_u32 s20, s25
	v_add_u32_e32 v2, 0x1000, v2
	v_fmac_f32_e32 v7, v4, v25
	v_fmac_f32_e32 v6, v28, v4
	s_cbranch_scc0 .LBB13_24
; %bb.25:
	s_and_b32 s0, s17, 7
	s_cmp_eq_u32 s0, 0
	s_cbranch_scc0 .LBB13_28
	s_branch .LBB13_30
.LBB13_26:
	s_waitcnt lgkmcnt(0)
	v_mov_b32_e32 v1, 0x7fc00000
	s_branch .LBB13_31
.LBB13_27:
	s_mov_b32 s20, 0
	v_mov_b32_e32 v7, 0
	s_and_b32 s0, s17, 7
	s_cmp_eq_u32 s0, 0
	s_cbranch_scc1 .LBB13_30
.LBB13_28:
	s_lshl_b32 s1, s20, 3
	v_lshl_or_b32 v2, s20, 9, v0
	s_add_i32 s1, s1, 0
	s_mov_b32 s2, 0x3fb8aa3b
	s_mov_b32 s3, 0xc2ce8ed0
	;; [unrolled: 1-line block ×3, first 2 shown]
	v_mov_b32_e32 v4, 0x7f800000
	v_mov_b32_e32 v3, 0
	;; [unrolled: 1-line block ×3, first 2 shown]
.LBB13_29:                              ; =>This Inner Loop Header: Depth=1
	v_lshlrev_b64 v[8:9], 2, v[2:3]
	v_add_co_u32_e32 v8, vcc, s18, v8
	v_addc_co_u32_e32 v9, vcc, v5, v9, vcc
	global_load_dword v10, v[8:9], off
	v_mov_b32_e32 v8, s1
	ds_read_b64 v[8:9], v8
	s_add_i32 s1, s1, 8
	s_add_i32 s0, s0, -1
	v_add_u32_e32 v2, 0x200, v2
	s_cmp_lg_u32 s0, 0
	s_waitcnt lgkmcnt(0)
	v_sub_f32_e32 v8, v8, v1
	v_mul_f32_e32 v11, 0x3fb8aa3b, v8
	v_fma_f32 v12, v8, s2, -v11
	v_rndne_f32_e32 v13, v11
	v_fmac_f32_e32 v12, 0x32a5705f, v8
	v_sub_f32_e32 v11, v11, v13
	v_add_f32_e32 v11, v11, v12
	v_cvt_i32_f32_e32 v13, v13
	v_exp_f32_e32 v11, v11
	v_cmp_ngt_f32_e32 vcc, s3, v8
	v_ldexp_f32 v11, v11, v13
	v_cndmask_b32_e32 v11, 0, v11, vcc
	v_cmp_nlt_f32_e32 vcc, s4, v8
	v_cndmask_b32_e32 v8, v4, v11, vcc
	v_fmac_f32_e32 v7, v8, v9
	s_waitcnt vmcnt(0)
	v_fmac_f32_e32 v6, v10, v8
	s_cbranch_scc1 .LBB13_29
.LBB13_30:
	s_waitcnt lgkmcnt(0)
	v_div_scale_f32 v1, s[0:1], v7, v7, v6
	v_rcp_f32_e32 v2, v1
	v_div_scale_f32 v3, vcc, v6, v7, v6
	v_fma_f32 v4, -v1, v2, 1.0
	v_fmac_f32_e32 v2, v4, v2
	v_mul_f32_e32 v4, v3, v2
	v_fma_f32 v5, -v1, v4, v3
	v_fmac_f32_e32 v4, v5, v2
	v_fma_f32 v1, -v1, v4, v3
	v_div_fmas_f32 v1, v1, v2, v4
	v_div_fixup_f32 v1, v1, v7, v6
.LBB13_31:
	s_lshl_b32 s0, s16, 9
	s_ashr_i32 s1, s0, 31
	s_lshl_b64 s[0:1], s[0:1], 2
	s_add_u32 s0, s14, s0
	s_addc_u32 s1, s15, s1
	v_lshlrev_b32_e32 v0, 2, v0
	global_store_dword v0, v1, s[0:1]
	s_endpgm
	.section	.rodata,"a",@progbits
	.p2align	6, 0x0
	.amdhsa_kernel _ZL26flash_attn_combine_resultsILi512EEvPKfPK15HIP_vector_typeIfLj2EEPfi
		.amdhsa_group_segment_fixed_size 0
		.amdhsa_private_segment_fixed_size 0
		.amdhsa_kernarg_size 288
		.amdhsa_user_sgpr_count 6
		.amdhsa_user_sgpr_private_segment_buffer 1
		.amdhsa_user_sgpr_dispatch_ptr 0
		.amdhsa_user_sgpr_queue_ptr 0
		.amdhsa_user_sgpr_kernarg_segment_ptr 1
		.amdhsa_user_sgpr_dispatch_id 0
		.amdhsa_user_sgpr_flat_scratch_init 0
		.amdhsa_user_sgpr_kernarg_preload_length 0
		.amdhsa_user_sgpr_kernarg_preload_offset 0
		.amdhsa_user_sgpr_private_segment_size 0
		.amdhsa_uses_dynamic_stack 0
		.amdhsa_system_sgpr_private_segment_wavefront_offset 0
		.amdhsa_system_sgpr_workgroup_id_x 1
		.amdhsa_system_sgpr_workgroup_id_y 1
		.amdhsa_system_sgpr_workgroup_id_z 1
		.amdhsa_system_sgpr_workgroup_info 0
		.amdhsa_system_vgpr_workitem_id 0
		.amdhsa_next_free_vgpr 51
		.amdhsa_next_free_sgpr 26
		.amdhsa_accum_offset 52
		.amdhsa_reserve_vcc 1
		.amdhsa_reserve_flat_scratch 0
		.amdhsa_float_round_mode_32 0
		.amdhsa_float_round_mode_16_64 0
		.amdhsa_float_denorm_mode_32 3
		.amdhsa_float_denorm_mode_16_64 3
		.amdhsa_dx10_clamp 1
		.amdhsa_ieee_mode 1
		.amdhsa_fp16_overflow 0
		.amdhsa_tg_split 0
		.amdhsa_exception_fp_ieee_invalid_op 0
		.amdhsa_exception_fp_denorm_src 0
		.amdhsa_exception_fp_ieee_div_zero 0
		.amdhsa_exception_fp_ieee_overflow 0
		.amdhsa_exception_fp_ieee_underflow 0
		.amdhsa_exception_fp_ieee_inexact 0
		.amdhsa_exception_int_div_zero 0
	.end_amdhsa_kernel
	.section	.text._ZL26flash_attn_combine_resultsILi512EEvPKfPK15HIP_vector_typeIfLj2EEPfi,"axG",@progbits,_ZL26flash_attn_combine_resultsILi512EEvPKfPK15HIP_vector_typeIfLj2EEPfi,comdat
.Lfunc_end13:
	.size	_ZL26flash_attn_combine_resultsILi512EEvPKfPK15HIP_vector_typeIfLj2EEPfi, .Lfunc_end13-_ZL26flash_attn_combine_resultsILi512EEvPKfPK15HIP_vector_typeIfLj2EEPfi
                                        ; -- End function
	.section	.AMDGPU.csdata,"",@progbits
; Kernel info:
; codeLenInByte = 3048
; NumSgprs: 30
; NumVgprs: 51
; NumAgprs: 0
; TotalNumVgprs: 51
; ScratchSize: 0
; MemoryBound: 0
; FloatMode: 240
; IeeeMode: 1
; LDSByteSize: 0 bytes/workgroup (compile time only)
; SGPRBlocks: 3
; VGPRBlocks: 6
; NumSGPRsForWavesPerEU: 30
; NumVGPRsForWavesPerEU: 51
; AccumOffset: 52
; Occupancy: 8
; WaveLimiterHint : 0
; COMPUTE_PGM_RSRC2:SCRATCH_EN: 0
; COMPUTE_PGM_RSRC2:USER_SGPR: 6
; COMPUTE_PGM_RSRC2:TRAP_HANDLER: 0
; COMPUTE_PGM_RSRC2:TGID_X_EN: 1
; COMPUTE_PGM_RSRC2:TGID_Y_EN: 1
; COMPUTE_PGM_RSRC2:TGID_Z_EN: 1
; COMPUTE_PGM_RSRC2:TIDIG_COMP_CNT: 0
; COMPUTE_PGM_RSRC3_GFX90A:ACCUM_OFFSET: 12
; COMPUTE_PGM_RSRC3_GFX90A:TG_SPLIT: 0
	.text
	.p2alignl 6, 3212836864
	.fill 256, 4, 3212836864
	.type	.str.1,@object                  ; @.str.1
	.section	.rodata.str1.1,"aMS",@progbits,1
.str.1:
	.asciz	"/root/src/amdgpu-assembly/repos/ggml-org__llama.cpp/ggml/src/ggml-cuda/template-instances/../fattn-mma-f16.cuh"
	.size	.str.1, 111

	.type	__FUNCTION__._ZL18flash_attn_ext_f16ILi192ELi128ELi2ELi16ELb1ELb0EEvPKcS1_S1_S1_S1_PKiPfP15HIP_vector_typeIfLj2EEffffjfiS5_IjLj3EEiiiiiiiiiiiliiliiiiil,@object ; @__FUNCTION__._ZL18flash_attn_ext_f16ILi192ELi128ELi2ELi16ELb1ELb0EEvPKcS1_S1_S1_S1_PKiPfP15HIP_vector_typeIfLj2EEffffjfiS5_IjLj3EEiiiiiiiiiiiliiliiiiil
__FUNCTION__._ZL18flash_attn_ext_f16ILi192ELi128ELi2ELi16ELb1ELb0EEvPKcS1_S1_S1_S1_PKiPfP15HIP_vector_typeIfLj2EEffffjfiS5_IjLj3EEiiiiiiiiiiiliiliiiiil:
	.asciz	"flash_attn_ext_f16"
	.size	__FUNCTION__._ZL18flash_attn_ext_f16ILi192ELi128ELi2ELi16ELb1ELb0EEvPKcS1_S1_S1_S1_PKiPfP15HIP_vector_typeIfLj2EEffffjfiS5_IjLj3EEiiiiiiiiiiiliiliiiiil, 19

	.type	.str.3,@object                  ; @.str.3
.str.3:
	.asciz	"%s:%d: ERROR: HIP kernel %s has no device code compatible with HIP arch %d.\n"
	.size	.str.3, 77

	.type	__hip_cuid_7d363410e0e63d4b,@object ; @__hip_cuid_7d363410e0e63d4b
	.section	.bss,"aw",@nobits
	.globl	__hip_cuid_7d363410e0e63d4b
__hip_cuid_7d363410e0e63d4b:
	.byte	0                               ; 0x0
	.size	__hip_cuid_7d363410e0e63d4b, 1

	.ident	"AMD clang version 19.0.0git (https://github.com/RadeonOpenCompute/llvm-project roc-6.4.0 25133 c7fe45cf4b819c5991fe208aaa96edf142730f1d)"
	.section	".note.GNU-stack","",@progbits
	.addrsig
	.addrsig_sym __hip_cuid_7d363410e0e63d4b
	.amdgpu_metadata
---
amdhsa.kernels:
  - .agpr_count:     68
    .args:
      - .address_space:  global
        .offset:         0
        .size:           8
        .value_kind:     global_buffer
      - .address_space:  global
        .offset:         8
        .size:           8
        .value_kind:     global_buffer
      - .address_space:  global
        .offset:         16
        .size:           8
        .value_kind:     global_buffer
      - .address_space:  global
        .offset:         24
        .size:           8
        .value_kind:     global_buffer
      - .address_space:  global
        .offset:         32
        .size:           8
        .value_kind:     global_buffer
      - .address_space:  global
        .offset:         40
        .size:           8
        .value_kind:     global_buffer
      - .address_space:  global
        .offset:         48
        .size:           8
        .value_kind:     global_buffer
      - .address_space:  global
        .offset:         56
        .size:           8
        .value_kind:     global_buffer
      - .offset:         64
        .size:           4
        .value_kind:     by_value
      - .offset:         68
        .size:           4
        .value_kind:     by_value
      - .offset:         72
        .size:           4
        .value_kind:     by_value
      - .offset:         76
        .size:           4
        .value_kind:     by_value
      - .offset:         80
        .size:           4
        .value_kind:     by_value
      - .offset:         84
        .size:           4
        .value_kind:     by_value
      - .offset:         88
        .size:           4
        .value_kind:     by_value
      - .offset:         92
        .size:           12
        .value_kind:     by_value
      - .offset:         104
        .size:           4
        .value_kind:     by_value
      - .offset:         108
        .size:           4
        .value_kind:     by_value
      - .offset:         112
        .size:           4
        .value_kind:     by_value
      - .offset:         116
        .size:           4
        .value_kind:     by_value
      - .offset:         120
        .size:           4
        .value_kind:     by_value
      - .offset:         124
        .size:           4
        .value_kind:     by_value
      - .offset:         128
        .size:           4
        .value_kind:     by_value
      - .offset:         132
        .size:           4
        .value_kind:     by_value
      - .offset:         136
        .size:           4
        .value_kind:     by_value
      - .offset:         140
        .size:           4
        .value_kind:     by_value
      - .offset:         144
        .size:           4
        .value_kind:     by_value
      - .offset:         152
        .size:           8
        .value_kind:     by_value
      - .offset:         160
        .size:           4
        .value_kind:     by_value
      - .offset:         164
        .size:           4
        .value_kind:     by_value
      - .offset:         168
        .size:           8
        .value_kind:     by_value
      - .offset:         176
        .size:           4
        .value_kind:     by_value
      - .offset:         180
        .size:           4
        .value_kind:     by_value
      - .offset:         184
        .size:           4
        .value_kind:     by_value
      - .offset:         188
        .size:           4
        .value_kind:     by_value
      - .offset:         192
        .size:           4
        .value_kind:     by_value
      - .offset:         200
        .size:           8
        .value_kind:     by_value
      - .offset:         208
        .size:           4
        .value_kind:     hidden_block_count_x
      - .offset:         212
        .size:           4
        .value_kind:     hidden_block_count_y
      - .offset:         216
        .size:           4
        .value_kind:     hidden_block_count_z
      - .offset:         220
        .size:           2
        .value_kind:     hidden_group_size_x
      - .offset:         222
        .size:           2
        .value_kind:     hidden_group_size_y
      - .offset:         224
        .size:           2
        .value_kind:     hidden_group_size_z
      - .offset:         226
        .size:           2
        .value_kind:     hidden_remainder_x
      - .offset:         228
        .size:           2
        .value_kind:     hidden_remainder_y
      - .offset:         230
        .size:           2
        .value_kind:     hidden_remainder_z
      - .offset:         248
        .size:           8
        .value_kind:     hidden_global_offset_x
      - .offset:         256
        .size:           8
        .value_kind:     hidden_global_offset_y
      - .offset:         264
        .size:           8
        .value_kind:     hidden_global_offset_z
      - .offset:         272
        .size:           2
        .value_kind:     hidden_grid_dims
      - .offset:         328
        .size:           4
        .value_kind:     hidden_dynamic_lds_size
    .group_segment_fixed_size: 0
    .kernarg_segment_align: 8
    .kernarg_segment_size: 464
    .language:       OpenCL C
    .language_version:
      - 2
      - 0
    .max_flat_workgroup_size: 256
    .name:           _ZL18flash_attn_ext_f16ILi192ELi128ELi2ELi16ELb0ELb0EEvPKcS1_S1_S1_S1_PKiPfP15HIP_vector_typeIfLj2EEffffjfiS5_IjLj3EEiiiiiiiiiiiliiliiiiil
    .private_segment_fixed_size: 0
    .sgpr_count:     100
    .sgpr_spill_count: 26
    .symbol:         _ZL18flash_attn_ext_f16ILi192ELi128ELi2ELi16ELb0ELb0EEvPKcS1_S1_S1_S1_PKiPfP15HIP_vector_typeIfLj2EEffffjfiS5_IjLj3EEiiiiiiiiiiiliiliiiiil.kd
    .uniform_work_group_size: 1
    .uses_dynamic_stack: false
    .vgpr_count:     324
    .vgpr_spill_count: 0
    .wavefront_size: 64
  - .agpr_count:     0
    .args:
      - .address_space:  global
        .offset:         0
        .size:           8
        .value_kind:     global_buffer
      - .address_space:  global
        .offset:         8
        .size:           8
        .value_kind:     global_buffer
      - .address_space:  global
        .offset:         16
        .size:           8
        .value_kind:     global_buffer
      - .address_space:  global
        .offset:         24
        .size:           8
        .value_kind:     global_buffer
      - .address_space:  global
        .offset:         32
        .size:           8
        .value_kind:     global_buffer
      - .address_space:  global
        .offset:         40
        .size:           8
        .value_kind:     global_buffer
      - .address_space:  global
        .offset:         48
        .size:           8
        .value_kind:     global_buffer
      - .address_space:  global
        .offset:         56
        .size:           8
        .value_kind:     global_buffer
      - .offset:         64
        .size:           4
        .value_kind:     by_value
      - .offset:         68
        .size:           4
        .value_kind:     by_value
      - .offset:         72
        .size:           4
        .value_kind:     by_value
      - .offset:         76
        .size:           4
        .value_kind:     by_value
      - .offset:         80
        .size:           4
        .value_kind:     by_value
      - .offset:         84
        .size:           4
        .value_kind:     by_value
      - .offset:         88
        .size:           4
        .value_kind:     by_value
      - .offset:         92
        .size:           12
        .value_kind:     by_value
      - .offset:         104
        .size:           4
        .value_kind:     by_value
      - .offset:         108
        .size:           4
        .value_kind:     by_value
      - .offset:         112
        .size:           4
        .value_kind:     by_value
      - .offset:         116
        .size:           4
        .value_kind:     by_value
      - .offset:         120
        .size:           4
        .value_kind:     by_value
      - .offset:         124
        .size:           4
        .value_kind:     by_value
      - .offset:         128
        .size:           4
        .value_kind:     by_value
      - .offset:         132
        .size:           4
        .value_kind:     by_value
      - .offset:         136
        .size:           4
        .value_kind:     by_value
      - .offset:         140
        .size:           4
        .value_kind:     by_value
      - .offset:         144
        .size:           4
        .value_kind:     by_value
      - .offset:         152
        .size:           8
        .value_kind:     by_value
      - .offset:         160
        .size:           4
        .value_kind:     by_value
      - .offset:         164
        .size:           4
        .value_kind:     by_value
      - .offset:         168
        .size:           8
        .value_kind:     by_value
      - .offset:         176
        .size:           4
        .value_kind:     by_value
      - .offset:         180
        .size:           4
        .value_kind:     by_value
      - .offset:         184
        .size:           4
        .value_kind:     by_value
      - .offset:         188
        .size:           4
        .value_kind:     by_value
      - .offset:         192
        .size:           4
        .value_kind:     by_value
      - .offset:         200
        .size:           8
        .value_kind:     by_value
      - .offset:         208
        .size:           4
        .value_kind:     hidden_block_count_x
      - .offset:         212
        .size:           4
        .value_kind:     hidden_block_count_y
      - .offset:         216
        .size:           4
        .value_kind:     hidden_block_count_z
      - .offset:         220
        .size:           2
        .value_kind:     hidden_group_size_x
      - .offset:         222
        .size:           2
        .value_kind:     hidden_group_size_y
      - .offset:         224
        .size:           2
        .value_kind:     hidden_group_size_z
      - .offset:         226
        .size:           2
        .value_kind:     hidden_remainder_x
      - .offset:         228
        .size:           2
        .value_kind:     hidden_remainder_y
      - .offset:         230
        .size:           2
        .value_kind:     hidden_remainder_z
      - .offset:         248
        .size:           8
        .value_kind:     hidden_global_offset_x
      - .offset:         256
        .size:           8
        .value_kind:     hidden_global_offset_y
      - .offset:         264
        .size:           8
        .value_kind:     hidden_global_offset_z
      - .offset:         272
        .size:           2
        .value_kind:     hidden_grid_dims
      - .offset:         288
        .size:           8
        .value_kind:     hidden_hostcall_buffer
    .group_segment_fixed_size: 0
    .kernarg_segment_align: 8
    .kernarg_segment_size: 464
    .language:       OpenCL C
    .language_version:
      - 2
      - 0
    .max_flat_workgroup_size: 256
    .name:           _ZL18flash_attn_ext_f16ILi192ELi128ELi2ELi16ELb1ELb0EEvPKcS1_S1_S1_S1_PKiPfP15HIP_vector_typeIfLj2EEffffjfiS5_IjLj3EEiiiiiiiiiiiliiliiiiil
    .private_segment_fixed_size: 16
    .sgpr_count:     40
    .sgpr_spill_count: 0
    .symbol:         _ZL18flash_attn_ext_f16ILi192ELi128ELi2ELi16ELb1ELb0EEvPKcS1_S1_S1_S1_PKiPfP15HIP_vector_typeIfLj2EEffffjfiS5_IjLj3EEiiiiiiiiiiiliiliiiiil.kd
    .uniform_work_group_size: 1
    .uses_dynamic_stack: false
    .vgpr_count:     39
    .vgpr_spill_count: 0
    .wavefront_size: 64
  - .agpr_count:     0
    .args:
      - .actual_access:  read_only
        .address_space:  global
        .offset:         0
        .size:           8
        .value_kind:     global_buffer
      - .actual_access:  write_only
        .address_space:  global
        .offset:         8
        .size:           8
        .value_kind:     global_buffer
      - .offset:         16
        .size:           4
        .value_kind:     by_value
      - .offset:         20
        .size:           4
        .value_kind:     by_value
      - .offset:         24
        .size:           4
        .value_kind:     by_value
      - .offset:         32
        .size:           4
        .value_kind:     hidden_block_count_x
      - .offset:         36
        .size:           4
        .value_kind:     hidden_block_count_y
      - .offset:         40
        .size:           4
        .value_kind:     hidden_block_count_z
      - .offset:         44
        .size:           2
        .value_kind:     hidden_group_size_x
      - .offset:         46
        .size:           2
        .value_kind:     hidden_group_size_y
      - .offset:         48
        .size:           2
        .value_kind:     hidden_group_size_z
      - .offset:         50
        .size:           2
        .value_kind:     hidden_remainder_x
      - .offset:         52
        .size:           2
        .value_kind:     hidden_remainder_y
      - .offset:         54
        .size:           2
        .value_kind:     hidden_remainder_z
      - .offset:         72
        .size:           8
        .value_kind:     hidden_global_offset_x
      - .offset:         80
        .size:           8
        .value_kind:     hidden_global_offset_y
      - .offset:         88
        .size:           8
        .value_kind:     hidden_global_offset_z
      - .offset:         96
        .size:           2
        .value_kind:     hidden_grid_dims
    .group_segment_fixed_size: 128
    .kernarg_segment_align: 8
    .kernarg_segment_size: 288
    .language:       OpenCL C
    .language_version:
      - 2
      - 0
    .max_flat_workgroup_size: 128
    .name:           _ZL25flash_attn_mask_to_KV_maxILi2EEvPK7__half2Piiii
    .private_segment_fixed_size: 0
    .sgpr_count:     30
    .sgpr_spill_count: 0
    .symbol:         _ZL25flash_attn_mask_to_KV_maxILi2EEvPK7__half2Piiii.kd
    .uniform_work_group_size: 1
    .uses_dynamic_stack: false
    .vgpr_count:     17
    .vgpr_spill_count: 0
    .wavefront_size: 64
  - .agpr_count:     0
    .args:
      - .address_space:  global
        .offset:         0
        .size:           8
        .value_kind:     global_buffer
      - .address_space:  global
        .offset:         8
        .size:           8
        .value_kind:     global_buffer
      - .offset:         16
        .size:           4
        .value_kind:     by_value
      - .offset:         20
        .size:           4
        .value_kind:     by_value
      - .offset:         24
        .size:           4
        .value_kind:     by_value
      - .offset:         28
        .size:           4
        .value_kind:     by_value
      - .offset:         32
        .size:           4
        .value_kind:     by_value
      - .offset:         36
        .size:           4
        .value_kind:     by_value
      - .offset:         40
        .size:           12
        .value_kind:     by_value
      - .offset:         52
        .size:           12
        .value_kind:     by_value
      - .offset:         64
        .size:           12
        .value_kind:     by_value
    .group_segment_fixed_size: 0
    .kernarg_segment_align: 8
    .kernarg_segment_size: 76
    .language:       OpenCL C
    .language_version:
      - 2
      - 0
    .max_flat_workgroup_size: 128
    .name:           _ZL33flash_attn_stream_k_fixup_uniformILi128ELi2ELi16EEvPfPK15HIP_vector_typeIfLj2EEiiiiiiS1_IjLj3EES5_S5_
    .private_segment_fixed_size: 0
    .sgpr_count:     24
    .sgpr_spill_count: 0
    .symbol:         _ZL33flash_attn_stream_k_fixup_uniformILi128ELi2ELi16EEvPfPK15HIP_vector_typeIfLj2EEiiiiiiS1_IjLj3EES5_S5_.kd
    .uniform_work_group_size: 1
    .uses_dynamic_stack: false
    .vgpr_count:     17
    .vgpr_spill_count: 0
    .wavefront_size: 64
  - .agpr_count:     0
    .args:
      - .address_space:  global
        .offset:         0
        .size:           8
        .value_kind:     global_buffer
      - .address_space:  global
        .offset:         8
        .size:           8
        .value_kind:     global_buffer
      - .offset:         16
        .size:           4
        .value_kind:     by_value
      - .offset:         20
        .size:           4
        .value_kind:     by_value
      - .offset:         24
        .size:           4
        .value_kind:     by_value
      - .offset:         28
        .size:           4
        .value_kind:     by_value
      - .offset:         32
        .size:           12
        .value_kind:     by_value
      - .offset:         44
        .size:           12
        .value_kind:     by_value
      - .offset:         56
        .size:           12
        .value_kind:     by_value
      - .offset:         68
        .size:           12
        .value_kind:     by_value
      - .offset:         80
        .size:           4
        .value_kind:     hidden_block_count_x
      - .offset:         84
        .size:           4
        .value_kind:     hidden_block_count_y
      - .offset:         88
        .size:           4
        .value_kind:     hidden_block_count_z
      - .offset:         92
        .size:           2
        .value_kind:     hidden_group_size_x
      - .offset:         94
        .size:           2
        .value_kind:     hidden_group_size_y
      - .offset:         96
        .size:           2
        .value_kind:     hidden_group_size_z
      - .offset:         98
        .size:           2
        .value_kind:     hidden_remainder_x
      - .offset:         100
        .size:           2
        .value_kind:     hidden_remainder_y
      - .offset:         102
        .size:           2
        .value_kind:     hidden_remainder_z
      - .offset:         120
        .size:           8
        .value_kind:     hidden_global_offset_x
      - .offset:         128
        .size:           8
        .value_kind:     hidden_global_offset_y
      - .offset:         136
        .size:           8
        .value_kind:     hidden_global_offset_z
      - .offset:         144
        .size:           2
        .value_kind:     hidden_grid_dims
    .group_segment_fixed_size: 0
    .kernarg_segment_align: 8
    .kernarg_segment_size: 336
    .language:       OpenCL C
    .language_version:
      - 2
      - 0
    .max_flat_workgroup_size: 128
    .name:           _ZL33flash_attn_stream_k_fixup_generalILi128ELi2ELi16EEvPfPK15HIP_vector_typeIfLj2EEiiiiS1_IjLj3EES5_S5_S5_
    .private_segment_fixed_size: 0
    .sgpr_count:     36
    .sgpr_spill_count: 0
    .symbol:         _ZL33flash_attn_stream_k_fixup_generalILi128ELi2ELi16EEvPfPK15HIP_vector_typeIfLj2EEiiiiS1_IjLj3EES5_S5_S5_.kd
    .uniform_work_group_size: 1
    .uses_dynamic_stack: false
    .vgpr_count:     22
    .vgpr_spill_count: 0
    .wavefront_size: 64
  - .agpr_count:     0
    .args:
      - .address_space:  global
        .offset:         0
        .size:           8
        .value_kind:     global_buffer
      - .address_space:  global
        .offset:         8
        .size:           8
        .value_kind:     global_buffer
      - .address_space:  global
        .offset:         16
        .size:           8
        .value_kind:     global_buffer
      - .offset:         24
        .size:           4
        .value_kind:     by_value
      - .offset:         32
        .size:           4
        .value_kind:     hidden_block_count_x
      - .offset:         36
        .size:           4
        .value_kind:     hidden_block_count_y
      - .offset:         40
        .size:           4
        .value_kind:     hidden_block_count_z
      - .offset:         44
        .size:           2
        .value_kind:     hidden_group_size_x
      - .offset:         46
        .size:           2
        .value_kind:     hidden_group_size_y
      - .offset:         48
        .size:           2
        .value_kind:     hidden_group_size_z
      - .offset:         50
        .size:           2
        .value_kind:     hidden_remainder_x
      - .offset:         52
        .size:           2
        .value_kind:     hidden_remainder_y
      - .offset:         54
        .size:           2
        .value_kind:     hidden_remainder_z
      - .offset:         72
        .size:           8
        .value_kind:     hidden_global_offset_x
      - .offset:         80
        .size:           8
        .value_kind:     hidden_global_offset_y
      - .offset:         88
        .size:           8
        .value_kind:     hidden_global_offset_z
      - .offset:         96
        .size:           2
        .value_kind:     hidden_grid_dims
      - .offset:         152
        .size:           4
        .value_kind:     hidden_dynamic_lds_size
    .group_segment_fixed_size: 0
    .kernarg_segment_align: 8
    .kernarg_segment_size: 288
    .language:       OpenCL C
    .language_version:
      - 2
      - 0
    .max_flat_workgroup_size: 128
    .name:           _ZL26flash_attn_combine_resultsILi128EEvPKfPK15HIP_vector_typeIfLj2EEPfi
    .private_segment_fixed_size: 0
    .sgpr_count:     30
    .sgpr_spill_count: 0
    .symbol:         _ZL26flash_attn_combine_resultsILi128EEvPKfPK15HIP_vector_typeIfLj2EEPfi.kd
    .uniform_work_group_size: 1
    .uses_dynamic_stack: false
    .vgpr_count:     51
    .vgpr_spill_count: 0
    .wavefront_size: 64
  - .agpr_count:     0
    .args:
      - .address_space:  global
        .offset:         0
        .size:           8
        .value_kind:     global_buffer
      - .address_space:  global
        .offset:         8
        .size:           8
        .value_kind:     global_buffer
      - .address_space:  global
        .offset:         16
        .size:           8
        .value_kind:     global_buffer
      - .address_space:  global
        .offset:         24
        .size:           8
        .value_kind:     global_buffer
      - .address_space:  global
        .offset:         32
        .size:           8
        .value_kind:     global_buffer
      - .address_space:  global
        .offset:         40
        .size:           8
        .value_kind:     global_buffer
      - .address_space:  global
        .offset:         48
        .size:           8
        .value_kind:     global_buffer
      - .address_space:  global
        .offset:         56
        .size:           8
        .value_kind:     global_buffer
      - .offset:         64
        .size:           4
        .value_kind:     by_value
      - .offset:         68
        .size:           4
        .value_kind:     by_value
      - .offset:         72
        .size:           4
        .value_kind:     by_value
      - .offset:         76
        .size:           4
        .value_kind:     by_value
      - .offset:         80
        .size:           4
        .value_kind:     by_value
      - .offset:         84
        .size:           4
        .value_kind:     by_value
      - .offset:         88
        .size:           4
        .value_kind:     by_value
      - .offset:         92
        .size:           12
        .value_kind:     by_value
      - .offset:         104
        .size:           4
        .value_kind:     by_value
      - .offset:         108
        .size:           4
        .value_kind:     by_value
      - .offset:         112
        .size:           4
        .value_kind:     by_value
      - .offset:         116
        .size:           4
        .value_kind:     by_value
      - .offset:         120
        .size:           4
        .value_kind:     by_value
      - .offset:         124
        .size:           4
        .value_kind:     by_value
      - .offset:         128
        .size:           4
        .value_kind:     by_value
      - .offset:         132
        .size:           4
        .value_kind:     by_value
      - .offset:         136
        .size:           4
        .value_kind:     by_value
      - .offset:         140
        .size:           4
        .value_kind:     by_value
      - .offset:         144
        .size:           4
        .value_kind:     by_value
      - .offset:         152
        .size:           8
        .value_kind:     by_value
      - .offset:         160
        .size:           4
        .value_kind:     by_value
      - .offset:         164
        .size:           4
        .value_kind:     by_value
      - .offset:         168
        .size:           8
        .value_kind:     by_value
      - .offset:         176
        .size:           4
        .value_kind:     by_value
      - .offset:         180
        .size:           4
        .value_kind:     by_value
      - .offset:         184
        .size:           4
        .value_kind:     by_value
      - .offset:         188
        .size:           4
        .value_kind:     by_value
      - .offset:         192
        .size:           4
        .value_kind:     by_value
      - .offset:         200
        .size:           8
        .value_kind:     by_value
      - .offset:         208
        .size:           4
        .value_kind:     hidden_block_count_x
      - .offset:         212
        .size:           4
        .value_kind:     hidden_block_count_y
      - .offset:         216
        .size:           4
        .value_kind:     hidden_block_count_z
      - .offset:         220
        .size:           2
        .value_kind:     hidden_group_size_x
      - .offset:         222
        .size:           2
        .value_kind:     hidden_group_size_y
      - .offset:         224
        .size:           2
        .value_kind:     hidden_group_size_z
      - .offset:         226
        .size:           2
        .value_kind:     hidden_remainder_x
      - .offset:         228
        .size:           2
        .value_kind:     hidden_remainder_y
      - .offset:         230
        .size:           2
        .value_kind:     hidden_remainder_z
      - .offset:         248
        .size:           8
        .value_kind:     hidden_global_offset_x
      - .offset:         256
        .size:           8
        .value_kind:     hidden_global_offset_y
      - .offset:         264
        .size:           8
        .value_kind:     hidden_global_offset_z
      - .offset:         272
        .size:           2
        .value_kind:     hidden_grid_dims
      - .offset:         288
        .size:           8
        .value_kind:     hidden_hostcall_buffer
    .group_segment_fixed_size: 0
    .kernarg_segment_align: 8
    .kernarg_segment_size: 464
    .language:       OpenCL C
    .language_version:
      - 2
      - 0
    .max_flat_workgroup_size: 256
    .name:           _ZL18flash_attn_ext_f16ILi576ELi512ELi2ELi16ELb0ELb1EEvPKcS1_S1_S1_S1_PKiPfP15HIP_vector_typeIfLj2EEffffjfiS5_IjLj3EEiiiiiiiiiiiliiliiiiil
    .private_segment_fixed_size: 16
    .sgpr_count:     40
    .sgpr_spill_count: 0
    .symbol:         _ZL18flash_attn_ext_f16ILi576ELi512ELi2ELi16ELb0ELb1EEvPKcS1_S1_S1_S1_PKiPfP15HIP_vector_typeIfLj2EEffffjfiS5_IjLj3EEiiiiiiiiiiiliiliiiiil.kd
    .uniform_work_group_size: 1
    .uses_dynamic_stack: false
    .vgpr_count:     39
    .vgpr_spill_count: 0
    .wavefront_size: 64
  - .agpr_count:     0
    .args:
      - .address_space:  global
        .offset:         0
        .size:           8
        .value_kind:     global_buffer
      - .address_space:  global
        .offset:         8
        .size:           8
        .value_kind:     global_buffer
      - .address_space:  global
        .offset:         16
        .size:           8
        .value_kind:     global_buffer
      - .address_space:  global
        .offset:         24
        .size:           8
        .value_kind:     global_buffer
      - .address_space:  global
        .offset:         32
        .size:           8
        .value_kind:     global_buffer
      - .address_space:  global
        .offset:         40
        .size:           8
        .value_kind:     global_buffer
      - .address_space:  global
        .offset:         48
        .size:           8
        .value_kind:     global_buffer
      - .address_space:  global
        .offset:         56
        .size:           8
        .value_kind:     global_buffer
      - .offset:         64
        .size:           4
        .value_kind:     by_value
      - .offset:         68
        .size:           4
        .value_kind:     by_value
      - .offset:         72
        .size:           4
        .value_kind:     by_value
      - .offset:         76
        .size:           4
        .value_kind:     by_value
      - .offset:         80
        .size:           4
        .value_kind:     by_value
      - .offset:         84
        .size:           4
        .value_kind:     by_value
      - .offset:         88
        .size:           4
        .value_kind:     by_value
      - .offset:         92
        .size:           12
        .value_kind:     by_value
      - .offset:         104
        .size:           4
        .value_kind:     by_value
      - .offset:         108
        .size:           4
        .value_kind:     by_value
      - .offset:         112
        .size:           4
        .value_kind:     by_value
      - .offset:         116
        .size:           4
        .value_kind:     by_value
      - .offset:         120
        .size:           4
        .value_kind:     by_value
      - .offset:         124
        .size:           4
        .value_kind:     by_value
      - .offset:         128
        .size:           4
        .value_kind:     by_value
      - .offset:         132
        .size:           4
        .value_kind:     by_value
      - .offset:         136
        .size:           4
        .value_kind:     by_value
      - .offset:         140
        .size:           4
        .value_kind:     by_value
      - .offset:         144
        .size:           4
        .value_kind:     by_value
      - .offset:         152
        .size:           8
        .value_kind:     by_value
      - .offset:         160
        .size:           4
        .value_kind:     by_value
      - .offset:         164
        .size:           4
        .value_kind:     by_value
      - .offset:         168
        .size:           8
        .value_kind:     by_value
      - .offset:         176
        .size:           4
        .value_kind:     by_value
      - .offset:         180
        .size:           4
        .value_kind:     by_value
      - .offset:         184
        .size:           4
        .value_kind:     by_value
      - .offset:         188
        .size:           4
        .value_kind:     by_value
      - .offset:         192
        .size:           4
        .value_kind:     by_value
      - .offset:         200
        .size:           8
        .value_kind:     by_value
      - .offset:         208
        .size:           4
        .value_kind:     hidden_block_count_x
      - .offset:         212
        .size:           4
        .value_kind:     hidden_block_count_y
      - .offset:         216
        .size:           4
        .value_kind:     hidden_block_count_z
      - .offset:         220
        .size:           2
        .value_kind:     hidden_group_size_x
      - .offset:         222
        .size:           2
        .value_kind:     hidden_group_size_y
      - .offset:         224
        .size:           2
        .value_kind:     hidden_group_size_z
      - .offset:         226
        .size:           2
        .value_kind:     hidden_remainder_x
      - .offset:         228
        .size:           2
        .value_kind:     hidden_remainder_y
      - .offset:         230
        .size:           2
        .value_kind:     hidden_remainder_z
      - .offset:         248
        .size:           8
        .value_kind:     hidden_global_offset_x
      - .offset:         256
        .size:           8
        .value_kind:     hidden_global_offset_y
      - .offset:         264
        .size:           8
        .value_kind:     hidden_global_offset_z
      - .offset:         272
        .size:           2
        .value_kind:     hidden_grid_dims
      - .offset:         288
        .size:           8
        .value_kind:     hidden_hostcall_buffer
    .group_segment_fixed_size: 0
    .kernarg_segment_align: 8
    .kernarg_segment_size: 464
    .language:       OpenCL C
    .language_version:
      - 2
      - 0
    .max_flat_workgroup_size: 256
    .name:           _ZL18flash_attn_ext_f16ILi576ELi512ELi2ELi16ELb1ELb1EEvPKcS1_S1_S1_S1_PKiPfP15HIP_vector_typeIfLj2EEffffjfiS5_IjLj3EEiiiiiiiiiiiliiliiiiil
    .private_segment_fixed_size: 16
    .sgpr_count:     40
    .sgpr_spill_count: 0
    .symbol:         _ZL18flash_attn_ext_f16ILi576ELi512ELi2ELi16ELb1ELb1EEvPKcS1_S1_S1_S1_PKiPfP15HIP_vector_typeIfLj2EEffffjfiS5_IjLj3EEiiiiiiiiiiiliiliiiiil.kd
    .uniform_work_group_size: 1
    .uses_dynamic_stack: false
    .vgpr_count:     39
    .vgpr_spill_count: 0
    .wavefront_size: 64
  - .agpr_count:     0
    .args:
      - .address_space:  global
        .offset:         0
        .size:           8
        .value_kind:     global_buffer
      - .address_space:  global
        .offset:         8
        .size:           8
        .value_kind:     global_buffer
      - .offset:         16
        .size:           4
        .value_kind:     by_value
      - .offset:         20
        .size:           4
        .value_kind:     by_value
      - .offset:         24
        .size:           4
        .value_kind:     by_value
      - .offset:         28
        .size:           4
        .value_kind:     by_value
      - .offset:         32
        .size:           4
        .value_kind:     by_value
      - .offset:         36
        .size:           4
        .value_kind:     by_value
      - .offset:         40
        .size:           12
        .value_kind:     by_value
      - .offset:         52
        .size:           12
        .value_kind:     by_value
      - .offset:         64
        .size:           12
        .value_kind:     by_value
    .group_segment_fixed_size: 0
    .kernarg_segment_align: 8
    .kernarg_segment_size: 76
    .language:       OpenCL C
    .language_version:
      - 2
      - 0
    .max_flat_workgroup_size: 512
    .name:           _ZL33flash_attn_stream_k_fixup_uniformILi512ELi2ELi16EEvPfPK15HIP_vector_typeIfLj2EEiiiiiiS1_IjLj3EES5_S5_
    .private_segment_fixed_size: 0
    .sgpr_count:     24
    .sgpr_spill_count: 0
    .symbol:         _ZL33flash_attn_stream_k_fixup_uniformILi512ELi2ELi16EEvPfPK15HIP_vector_typeIfLj2EEiiiiiiS1_IjLj3EES5_S5_.kd
    .uniform_work_group_size: 1
    .uses_dynamic_stack: false
    .vgpr_count:     17
    .vgpr_spill_count: 0
    .wavefront_size: 64
  - .agpr_count:     0
    .args:
      - .address_space:  global
        .offset:         0
        .size:           8
        .value_kind:     global_buffer
      - .address_space:  global
        .offset:         8
        .size:           8
        .value_kind:     global_buffer
      - .offset:         16
        .size:           4
        .value_kind:     by_value
      - .offset:         20
        .size:           4
        .value_kind:     by_value
      - .offset:         24
        .size:           4
        .value_kind:     by_value
      - .offset:         28
        .size:           4
        .value_kind:     by_value
      - .offset:         32
        .size:           12
        .value_kind:     by_value
      - .offset:         44
        .size:           12
        .value_kind:     by_value
      - .offset:         56
        .size:           12
        .value_kind:     by_value
      - .offset:         68
        .size:           12
        .value_kind:     by_value
      - .offset:         80
        .size:           4
        .value_kind:     hidden_block_count_x
      - .offset:         84
        .size:           4
        .value_kind:     hidden_block_count_y
      - .offset:         88
        .size:           4
        .value_kind:     hidden_block_count_z
      - .offset:         92
        .size:           2
        .value_kind:     hidden_group_size_x
      - .offset:         94
        .size:           2
        .value_kind:     hidden_group_size_y
      - .offset:         96
        .size:           2
        .value_kind:     hidden_group_size_z
      - .offset:         98
        .size:           2
        .value_kind:     hidden_remainder_x
      - .offset:         100
        .size:           2
        .value_kind:     hidden_remainder_y
      - .offset:         102
        .size:           2
        .value_kind:     hidden_remainder_z
      - .offset:         120
        .size:           8
        .value_kind:     hidden_global_offset_x
      - .offset:         128
        .size:           8
        .value_kind:     hidden_global_offset_y
      - .offset:         136
        .size:           8
        .value_kind:     hidden_global_offset_z
      - .offset:         144
        .size:           2
        .value_kind:     hidden_grid_dims
    .group_segment_fixed_size: 0
    .kernarg_segment_align: 8
    .kernarg_segment_size: 336
    .language:       OpenCL C
    .language_version:
      - 2
      - 0
    .max_flat_workgroup_size: 512
    .name:           _ZL33flash_attn_stream_k_fixup_generalILi512ELi2ELi16EEvPfPK15HIP_vector_typeIfLj2EEiiiiS1_IjLj3EES5_S5_S5_
    .private_segment_fixed_size: 0
    .sgpr_count:     36
    .sgpr_spill_count: 0
    .symbol:         _ZL33flash_attn_stream_k_fixup_generalILi512ELi2ELi16EEvPfPK15HIP_vector_typeIfLj2EEiiiiS1_IjLj3EES5_S5_S5_.kd
    .uniform_work_group_size: 1
    .uses_dynamic_stack: false
    .vgpr_count:     22
    .vgpr_spill_count: 0
    .wavefront_size: 64
  - .agpr_count:     0
    .args:
      - .address_space:  global
        .offset:         0
        .size:           8
        .value_kind:     global_buffer
      - .address_space:  global
        .offset:         8
        .size:           8
        .value_kind:     global_buffer
      - .address_space:  global
        .offset:         16
        .size:           8
        .value_kind:     global_buffer
      - .offset:         24
        .size:           4
        .value_kind:     by_value
      - .offset:         32
        .size:           4
        .value_kind:     hidden_block_count_x
      - .offset:         36
        .size:           4
        .value_kind:     hidden_block_count_y
      - .offset:         40
        .size:           4
        .value_kind:     hidden_block_count_z
      - .offset:         44
        .size:           2
        .value_kind:     hidden_group_size_x
      - .offset:         46
        .size:           2
        .value_kind:     hidden_group_size_y
      - .offset:         48
        .size:           2
        .value_kind:     hidden_group_size_z
      - .offset:         50
        .size:           2
        .value_kind:     hidden_remainder_x
      - .offset:         52
        .size:           2
        .value_kind:     hidden_remainder_y
      - .offset:         54
        .size:           2
        .value_kind:     hidden_remainder_z
      - .offset:         72
        .size:           8
        .value_kind:     hidden_global_offset_x
      - .offset:         80
        .size:           8
        .value_kind:     hidden_global_offset_y
      - .offset:         88
        .size:           8
        .value_kind:     hidden_global_offset_z
      - .offset:         96
        .size:           2
        .value_kind:     hidden_grid_dims
      - .offset:         152
        .size:           4
        .value_kind:     hidden_dynamic_lds_size
    .group_segment_fixed_size: 0
    .kernarg_segment_align: 8
    .kernarg_segment_size: 288
    .language:       OpenCL C
    .language_version:
      - 2
      - 0
    .max_flat_workgroup_size: 512
    .name:           _ZL26flash_attn_combine_resultsILi512EEvPKfPK15HIP_vector_typeIfLj2EEPfi
    .private_segment_fixed_size: 0
    .sgpr_count:     30
    .sgpr_spill_count: 0
    .symbol:         _ZL26flash_attn_combine_resultsILi512EEvPKfPK15HIP_vector_typeIfLj2EEPfi.kd
    .uniform_work_group_size: 1
    .uses_dynamic_stack: false
    .vgpr_count:     51
    .vgpr_spill_count: 0
    .wavefront_size: 64
amdhsa.target:   amdgcn-amd-amdhsa--gfx90a
amdhsa.version:
  - 1
  - 2
...

	.end_amdgpu_metadata
